;; amdgpu-corpus repo=ROCm/rocFFT kind=compiled arch=gfx1201 opt=O3
	.text
	.amdgcn_target "amdgcn-amd-amdhsa--gfx1201"
	.amdhsa_code_object_version 6
	.protected	bluestein_single_fwd_len1701_dim1_sp_op_CI_CI ; -- Begin function bluestein_single_fwd_len1701_dim1_sp_op_CI_CI
	.globl	bluestein_single_fwd_len1701_dim1_sp_op_CI_CI
	.p2align	8
	.type	bluestein_single_fwd_len1701_dim1_sp_op_CI_CI,@function
bluestein_single_fwd_len1701_dim1_sp_op_CI_CI: ; @bluestein_single_fwd_len1701_dim1_sp_op_CI_CI
; %bb.0:
	s_load_b128 s[12:15], s[0:1], 0x28
	v_mul_u32_u24_e32 v1, 0x411, v0
	s_mov_b32 s2, exec_lo
	v_mov_b32_e32 v5, 0
	s_delay_alu instid0(VALU_DEP_2) | instskip(NEXT) | instid1(VALU_DEP_1)
	v_lshrrev_b32_e32 v1, 16, v1
	v_add_nc_u32_e32 v4, ttmp9, v1
	s_wait_kmcnt 0x0
	s_delay_alu instid0(VALU_DEP_1)
	v_cmpx_gt_u64_e64 s[12:13], v[4:5]
	s_cbranch_execz .LBB0_10
; %bb.1:
	s_clause 0x1
	s_load_b128 s[4:7], s[0:1], 0x18
	s_load_b128 s[8:11], s[0:1], 0x0
	v_mul_lo_u16 v1, v1, 63
	v_mov_b32_e32 v5, v4
	s_delay_alu instid0(VALU_DEP_2) | instskip(SKIP_2) | instid1(VALU_DEP_1)
	v_sub_nc_u16 v48, v0, v1
	scratch_store_b64 off, v[5:6], off offset:12 ; 8-byte Folded Spill
	v_and_b32_e32 v206, 0xffff, v48
	v_lshlrev_b32_e32 v255, 3, v206
	v_add_co_u32 v248, null, 0xbd, v206
	s_wait_kmcnt 0x0
	s_load_b128 s[16:19], s[4:5], 0x0
	s_movk_i32 s4, 0xde88
	global_load_b64 v[19:20], v255, s[8:9]
	s_mov_b32 s5, -1
	s_wait_kmcnt 0x0
	v_mad_co_u64_u32 v[0:1], null, s18, v4, 0
	v_mad_co_u64_u32 v[2:3], null, s16, v206, 0
	s_mul_u64 s[2:3], s[16:17], 0x11b8
	s_mul_u64 s[4:5], s[16:17], s[4:5]
	s_delay_alu instid0(VALU_DEP_1) | instskip(NEXT) | instid1(VALU_DEP_1)
	v_mad_co_u64_u32 v[4:5], null, s19, v4, v[1:2]
	v_mad_co_u64_u32 v[5:6], null, s17, v206, v[3:4]
	v_mov_b32_e32 v1, v4
	s_delay_alu instid0(VALU_DEP_1) | instskip(NEXT) | instid1(VALU_DEP_3)
	v_lshlrev_b64_e32 v[0:1], 3, v[0:1]
	v_mov_b32_e32 v3, v5
	s_delay_alu instid0(VALU_DEP_2) | instskip(NEXT) | instid1(VALU_DEP_2)
	v_add_co_u32 v0, vcc_lo, s14, v0
	v_lshlrev_b64_e32 v[2:3], 3, v[2:3]
	s_delay_alu instid0(VALU_DEP_4) | instskip(NEXT) | instid1(VALU_DEP_2)
	v_add_co_ci_u32_e32 v1, vcc_lo, s15, v1, vcc_lo
	v_add_co_u32 v2, vcc_lo, v0, v2
	s_wait_alu 0xfffd
	s_delay_alu instid0(VALU_DEP_2)
	v_add_co_ci_u32_e32 v3, vcc_lo, v1, v3, vcc_lo
	global_load_b64 v[0:1], v[2:3], off
	v_add_co_u32 v2, vcc_lo, v2, s2
	s_wait_alu 0xfffd
	v_add_co_ci_u32_e32 v3, vcc_lo, s3, v3, vcc_lo
	s_wait_loadcnt 0x0
	v_mul_f32_e32 v10, v1, v20
	global_load_b64 v[21:22], v255, s[8:9] offset:4536
	global_load_b64 v[4:5], v[2:3], off
	v_add_co_u32 v2, vcc_lo, v2, s2
	s_wait_alu 0xfffd
	v_add_co_ci_u32_e32 v3, vcc_lo, s3, v3, vcc_lo
	v_fmac_f32_e32 v10, v0, v19
	global_load_b64 v[23:24], v255, s[8:9] offset:9072
	v_add_co_u32 v8, vcc_lo, v2, s4
	global_load_b64 v[6:7], v[2:3], off
	s_wait_alu 0xfffd
	v_add_co_ci_u32_e32 v9, vcc_lo, s5, v3, vcc_lo
	global_load_b64 v[17:18], v255, s[8:9] offset:504
	global_load_b64 v[2:3], v[8:9], off
	s_clause 0x6
	global_load_b64 v[55:56], v255, s[8:9] offset:5040
	global_load_b64 v[51:52], v255, s[8:9] offset:5544
	;; [unrolled: 1-line block ×7, first 2 shown]
	v_mul_f32_e32 v11, v0, v20
	v_add_co_u32 v8, vcc_lo, v8, s2
	s_wait_alu 0xfffd
	v_add_co_ci_u32_e32 v9, vcc_lo, s3, v9, vcc_lo
	scratch_store_b64 off, v[19:20], off offset:28 ; 8-byte Folded Spill
	v_add_co_u32 v14, vcc_lo, v8, s2
	s_wait_alu 0xfffd
	v_add_co_ci_u32_e32 v15, vcc_lo, s3, v9, vcc_lo
	v_add_nc_u32_e32 v222, 0x800, v255
	v_add_nc_u32_e32 v57, 0x1400, v255
	s_wait_loadcnt 0xc
	scratch_store_b64 off, v[21:22], off offset:36 ; 8-byte Folded Spill
	s_wait_loadcnt 0xb
	v_mul_f32_e32 v12, v5, v22
	s_delay_alu instid0(VALU_DEP_1)
	v_fmac_f32_e32 v12, v4, v21
	s_wait_loadcnt 0x8
	s_clause 0x1
	scratch_store_b64 off, v[17:18], off offset:20
	scratch_store_b64 off, v[23:24], off offset:44
	v_mul_f32_e32 v0, v7, v24
	v_mul_f32_e32 v16, v6, v24
	s_delay_alu instid0(VALU_DEP_2)
	v_fmac_f32_e32 v0, v6, v23
	v_fma_f32 v11, v1, v19, -v11
	v_mul_f32_e32 v1, v4, v22
	v_add_co_u32 v4, vcc_lo, v14, s4
	s_wait_loadcnt 0x7
	v_mul_f32_e32 v6, v3, v18
	s_delay_alu instid0(VALU_DEP_3)
	v_fma_f32 v13, v5, v21, -v1
	s_wait_alu 0xfffd
	v_add_co_ci_u32_e32 v5, vcc_lo, s5, v15, vcc_lo
	v_fma_f32 v1, v7, v23, -v16
	v_mul_f32_e32 v7, v2, v18
	ds_store_b64 v255, v[12:13] offset:4536
	v_add_co_u32 v12, vcc_lo, v4, s2
	ds_store_b64 v255, v[0:1] offset:9072
	s_wait_alu 0xfffd
	v_add_co_ci_u32_e32 v13, vcc_lo, s3, v5, vcc_lo
	v_fmac_f32_e32 v6, v2, v17
	v_add_co_u32 v2, vcc_lo, v12, s2
	v_fma_f32 v7, v3, v17, -v7
	s_wait_alu 0xfffd
	v_add_co_ci_u32_e32 v3, vcc_lo, s3, v13, vcc_lo
	s_delay_alu instid0(VALU_DEP_3)
	v_add_co_u32 v0, vcc_lo, v2, s4
	ds_store_2addr_b64 v255, v[10:11], v[6:7] offset1:63
	s_wait_alu 0xfffd
	v_add_co_ci_u32_e32 v1, vcc_lo, s5, v3, vcc_lo
	v_add_co_u32 v6, vcc_lo, v0, s2
	s_wait_alu 0xfffd
	s_delay_alu instid0(VALU_DEP_2) | instskip(NEXT) | instid1(VALU_DEP_2)
	v_add_co_ci_u32_e32 v7, vcc_lo, s3, v1, vcc_lo
	v_add_co_u32 v10, vcc_lo, v6, s2
	s_wait_alu 0xfffd
	s_delay_alu instid0(VALU_DEP_2) | instskip(NEXT) | instid1(VALU_DEP_2)
	;; [unrolled: 4-line block ×14, first 2 shown]
	v_add_co_ci_u32_e32 v39, vcc_lo, s3, v37, vcc_lo
	v_add_co_u32 v40, vcc_lo, v38, s4
	s_wait_alu 0xfffd
	s_delay_alu instid0(VALU_DEP_2)
	v_add_co_ci_u32_e32 v41, vcc_lo, s5, v39, vcc_lo
	global_load_b64 v[38:39], v[38:39], off
	s_clause 0x2
	global_load_b64 v[44:45], v255, s[8:9] offset:12600
	global_load_b64 v[49:50], v255, s[8:9] offset:13104
	;; [unrolled: 1-line block ×3, first 2 shown]
	global_load_b64 v[8:9], v[8:9], off
	s_wait_loadcnt 0xa
	scratch_store_b64 off, v[51:52], off offset:140 ; 8-byte Folded Spill
	s_wait_loadcnt 0x9
	scratch_store_b64 off, v[62:63], off offset:156 ; 8-byte Folded Spill
	s_wait_loadcnt 0x3
	v_mul_f32_e32 v42, v38, v45
	scratch_store_b64 off, v[44:45], off offset:76 ; 8-byte Folded Spill
	s_wait_loadcnt 0x2
	s_clause 0x1
	scratch_store_b64 off, v[49:50], off offset:68
	scratch_store_b64 off, v[55:56], off offset:148
	v_fma_f32 v43, v39, v44, -v42
	v_mul_f32_e32 v42, v39, v45
	s_delay_alu instid0(VALU_DEP_1) | instskip(SKIP_3) | instid1(VALU_DEP_2)
	v_fmac_f32_e32 v42, v38, v44
	v_add_co_u32 v38, vcc_lo, v40, s2
	s_wait_alu 0xfffd
	v_add_co_ci_u32_e32 v39, vcc_lo, s3, v41, vcc_lo
	v_add_co_u32 v44, vcc_lo, v38, s2
	s_wait_alu 0xfffd
	s_delay_alu instid0(VALU_DEP_2) | instskip(SKIP_4) | instid1(VALU_DEP_1)
	v_add_co_ci_u32_e32 v45, vcc_lo, s3, v39, vcc_lo
	v_cmp_gt_u16_e32 vcc_lo, 18, v48
	global_load_b64 v[44:45], v[44:45], off
	s_wait_loadcnt 0x0
	v_mul_f32_e32 v46, v44, v50
	v_fma_f32 v46, v45, v49, -v46
	v_dual_mul_f32 v45, v45, v50 :: v_dual_add_nc_u32 v50, 0x2000, v255
	s_delay_alu instid0(VALU_DEP_1) | instskip(SKIP_3) | instid1(VALU_DEP_1)
	v_dual_fmac_f32 v45, v44, v49 :: v_dual_add_nc_u32 v44, 0x3000, v255
	v_add_nc_u32_e32 v49, 0x1000, v255
	ds_store_2addr_b64 v44, v[42:43], v[45:46] offset0:39 offset1:102
	v_mul_f32_e32 v42, v8, v56
	v_fma_f32 v43, v9, v55, -v42
	v_mul_f32_e32 v42, v9, v56
	v_add_nc_u32_e32 v56, 0x400, v255
	s_delay_alu instid0(VALU_DEP_2) | instskip(SKIP_3) | instid1(VALU_DEP_1)
	v_fmac_f32_e32 v42, v8, v55
	global_load_b64 v[8:9], v[12:13], off
	s_wait_loadcnt 0x0
	v_dual_mul_f32 v12, v8, v52 :: v_dual_add_nc_u32 v55, 0x2400, v255
	v_fma_f32 v13, v9, v51, -v12
	v_mul_f32_e32 v12, v9, v52
	v_add_nc_u32_e32 v52, 0x1800, v255
	s_delay_alu instid0(VALU_DEP_2)
	v_fmac_f32_e32 v12, v8, v51
	global_load_b64 v[8:9], v[14:15], off
	v_add_nc_u32_e32 v51, 0x2800, v255
	ds_store_2addr_b64 v49, v[42:43], v[12:13] offset0:118 offset1:181
	global_load_b64 v[2:3], v[2:3], off
	s_clause 0x3
	global_load_b64 v[46:47], v255, s[8:9] offset:10080
	global_load_b64 v[44:45], v255, s[8:9] offset:10584
	;; [unrolled: 1-line block ×4, first 2 shown]
	global_load_b64 v[0:1], v[0:1], off
	s_clause 0x1
	scratch_store_b64 off, v[66:67], off offset:172
	scratch_store_b64 off, v[64:65], off offset:164
	s_wait_loadcnt 0x6
	v_mul_f32_e32 v12, v8, v63
	s_wait_loadcnt 0x4
	scratch_store_b64 off, v[46:47], off offset:220 ; 8-byte Folded Spill
	v_fma_f32 v13, v9, v62, -v12
	v_mul_f32_e32 v12, v9, v63
	s_delay_alu instid0(VALU_DEP_1) | instskip(SKIP_1) | instid1(VALU_DEP_1)
	v_fmac_f32_e32 v12, v8, v62
	v_mul_f32_e32 v8, v2, v47
	v_fma_f32 v9, v3, v46, -v8
	v_mul_f32_e32 v8, v3, v47
	s_delay_alu instid0(VALU_DEP_1) | instskip(SKIP_4) | instid1(VALU_DEP_1)
	v_fmac_f32_e32 v8, v2, v46
	global_load_b64 v[2:3], v[4:5], off
	ds_store_2addr_b64 v50, v[12:13], v[8:9] offset0:173 offset1:236
	s_wait_loadcnt 0x0
	v_mul_f32_e32 v4, v2, v67
	v_fma_f32 v4, v3, v66, -v4
	v_mul_f32_e32 v3, v3, v67
	s_delay_alu instid0(VALU_DEP_1) | instskip(NEXT) | instid1(VALU_DEP_1)
	v_dual_fmac_f32 v3, v2, v66 :: v_dual_mul_f32 v2, v0, v65
	v_fma_f32 v2, v1, v64, -v2
	v_mul_f32_e32 v1, v1, v65
	s_delay_alu instid0(VALU_DEP_1)
	v_fmac_f32_e32 v1, v0, v64
	ds_store_2addr_b64 v255, v[3:4], v[1:2] offset0:126 offset1:189
	global_load_b64 v[0:1], v[6:7], off
	s_clause 0x3
	global_load_b64 v[3:4], v255, s[8:9] offset:6048
	global_load_b64 v[8:9], v255, s[8:9] offset:6552
	;; [unrolled: 1-line block ×4, first 2 shown]
	s_clause 0x1
	scratch_store_b64 off, v[44:45], off offset:212
	scratch_store_b64 off, v[42:43], off offset:180
	s_wait_loadcnt 0x3
	v_mul_f32_e32 v2, v0, v4
	s_wait_loadcnt 0x2
	s_clause 0x1
	scratch_store_b64 off, v[8:9], off offset:188
	scratch_store_b64 off, v[3:4], off offset:228
	v_fma_f32 v2, v1, v3, -v2
	v_mul_f32_e32 v1, v1, v4
	s_delay_alu instid0(VALU_DEP_1) | instskip(SKIP_3) | instid1(VALU_DEP_1)
	v_fmac_f32_e32 v1, v0, v3
	global_load_b64 v[3:4], v[18:19], off
	s_wait_loadcnt 0x0
	v_mul_f32_e32 v0, v3, v9
	v_fma_f32 v5, v4, v8, -v0
	v_mul_f32_e32 v4, v4, v9
	s_delay_alu instid0(VALU_DEP_1)
	v_fmac_f32_e32 v4, v3, v8
	ds_store_2addr_b64 v57, v[1:2], v[4:5] offset0:116 offset1:179
	global_load_b64 v[0:1], v[10:11], off
	global_load_b64 v[3:4], v[20:21], off
	s_wait_loadcnt 0x1
	v_mul_f32_e32 v2, v0, v45
	s_delay_alu instid0(VALU_DEP_1) | instskip(SKIP_2) | instid1(VALU_DEP_1)
	v_fma_f32 v2, v1, v44, -v2
	v_mul_f32_e32 v1, v1, v45
	s_wait_loadcnt 0x0
	v_dual_fmac_f32 v1, v0, v44 :: v_dual_mul_f32 v0, v3, v43
	s_delay_alu instid0(VALU_DEP_1) | instskip(SKIP_1) | instid1(VALU_DEP_1)
	v_fma_f32 v5, v4, v42, -v0
	v_mul_f32_e32 v4, v4, v43
	v_fmac_f32_e32 v4, v3, v42
	ds_store_2addr_b64 v51, v[1:2], v[4:5] offset0:43 offset1:106
	global_load_b64 v[0:1], v[16:17], off
	s_clause 0x3
	global_load_b64 v[3:4], v255, s[8:9] offset:2016
	global_load_b64 v[16:17], v255, s[8:9] offset:2520
	;; [unrolled: 1-line block ×4, first 2 shown]
	s_clause 0x3
	scratch_store_b64 off, v[6:7], off offset:100
	scratch_store_b64 off, v[14:15], off offset:116
	;; [unrolled: 1-line block ×4, first 2 shown]
	s_wait_loadcnt 0x3
	v_mul_f32_e32 v2, v0, v4
	scratch_store_b64 off, v[3:4], off offset:204 ; 8-byte Folded Spill
	s_wait_loadcnt 0x2
	scratch_store_b64 off, v[16:17], off offset:196 ; 8-byte Folded Spill
	s_wait_loadcnt 0x1
	;; [unrolled: 2-line block ×3, first 2 shown]
	scratch_store_b64 off, v[8:9], off offset:108 ; 8-byte Folded Spill
	v_fma_f32 v2, v1, v3, -v2
	v_mul_f32_e32 v1, v1, v4
	s_delay_alu instid0(VALU_DEP_1) | instskip(SKIP_3) | instid1(VALU_DEP_1)
	v_fmac_f32_e32 v1, v0, v3
	global_load_b64 v[3:4], v[22:23], off
	s_wait_loadcnt 0x0
	v_mul_f32_e32 v0, v3, v17
	v_fma_f32 v5, v4, v16, -v0
	v_mul_f32_e32 v4, v4, v17
	s_delay_alu instid0(VALU_DEP_1)
	v_fmac_f32_e32 v4, v3, v16
	ds_store_2addr_b64 v56, v[1:2], v[4:5] offset0:124 offset1:187
	global_load_b64 v[0:1], v[24:25], off
	global_load_b64 v[3:4], v[30:31], off
	s_wait_loadcnt 0x1
	v_mul_f32_e32 v2, v0, v13
	s_delay_alu instid0(VALU_DEP_1) | instskip(SKIP_2) | instid1(VALU_DEP_1)
	v_fma_f32 v2, v1, v12, -v2
	v_mul_f32_e32 v1, v1, v13
	s_wait_loadcnt 0x0
	v_dual_fmac_f32 v1, v0, v12 :: v_dual_mul_f32 v0, v3, v7
	s_delay_alu instid0(VALU_DEP_1) | instskip(SKIP_1) | instid1(VALU_DEP_1)
	v_fma_f32 v5, v4, v6, -v0
	v_mul_f32_e32 v4, v4, v7
	v_fmac_f32_e32 v4, v3, v6
	ds_store_2addr_b64 v52, v[1:2], v[4:5] offset0:114 offset1:177
	global_load_b64 v[0:1], v[26:27], off
	global_load_b64 v[3:4], v[32:33], off
	s_wait_loadcnt 0x1
	v_mul_f32_e32 v2, v0, v15
	s_delay_alu instid0(VALU_DEP_1) | instskip(SKIP_2) | instid1(VALU_DEP_1)
	v_fma_f32 v2, v1, v14, -v2
	v_mul_f32_e32 v1, v1, v15
	s_wait_loadcnt 0x0
	v_dual_fmac_f32 v1, v0, v14 :: v_dual_mul_f32 v0, v3, v61
	s_delay_alu instid0(VALU_DEP_1) | instskip(SKIP_1) | instid1(VALU_DEP_1)
	v_fma_f32 v5, v4, v60, -v0
	v_mul_f32_e32 v4, v4, v61
	;; [unrolled: 14-line block ×3, first 2 shown]
	v_fmac_f32_e32 v4, v3, v8
	ds_store_2addr_b64 v222, v[1:2], v[4:5] offset0:122 offset1:185
	global_load_b64 v[0:1], v[36:37], off
	global_load_b64 v[3:4], v255, s[8:9] offset:8064
	s_clause 0x1
	scratch_store_b64 off, v[53:54], off offset:52
	scratch_store_b64 off, v[58:59], off offset:60
	s_load_b128 s[4:7], s[6:7], 0x0
	s_wait_loadcnt 0x0
	v_mul_f32_e32 v2, v0, v4
	scratch_store_b64 off, v[3:4], off offset:92 ; 8-byte Folded Spill
	v_fma_f32 v2, v1, v3, -v2
	v_mul_f32_e32 v1, v1, v4
	s_delay_alu instid0(VALU_DEP_1) | instskip(SKIP_3) | instid1(VALU_DEP_1)
	v_fmac_f32_e32 v1, v0, v3
	global_load_b64 v[3:4], v[38:39], off
	s_wait_loadcnt 0x0
	v_mul_f32_e32 v0, v3, v54
	v_fma_f32 v5, v4, v53, -v0
	v_mul_f32_e32 v4, v4, v54
	v_add_nc_u32_e32 v54, 0xc00, v255
	s_delay_alu instid0(VALU_DEP_2) | instskip(SKIP_4) | instid1(VALU_DEP_1)
	v_dual_fmac_f32 v4, v3, v53 :: v_dual_add_nc_u32 v53, 0x1c00, v255
	ds_store_2addr_b64 v53, v[1:2], v[4:5] offset0:112 offset1:175
	global_load_b64 v[0:1], v[40:41], off
	s_wait_loadcnt 0x0
	v_mul_f32_e32 v2, v0, v59
	v_fma_f32 v2, v1, v58, -v2
	v_mul_f32_e32 v1, v1, v59
	s_delay_alu instid0(VALU_DEP_1)
	v_fmac_f32_e32 v1, v0, v58
	ds_store_b64 v255, v[1:2] offset:4032
	global_wb scope:SCOPE_SE
	s_wait_storecnt_dscnt 0x0
	s_wait_kmcnt 0x0
	s_barrier_signal -1
	s_barrier_wait -1
	global_inv scope:SCOPE_SE
	ds_load_2addr_b64 v[4:7], v255 offset1:63
	ds_load_2addr_b64 v[0:3], v54 offset0:120 offset1:183
	ds_load_2addr_b64 v[58:61], v50 offset0:110 offset1:173
	s_wait_dscnt 0x1
	v_dual_add_f32 v9, v5, v3 :: v_dual_add_f32 v8, v4, v2
	s_wait_dscnt 0x0
	s_delay_alu instid0(VALU_DEP_1) | instskip(NEXT) | instid1(VALU_DEP_2)
	v_add_f32_e32 v47, v9, v59
	v_dual_add_f32 v9, v3, v59 :: v_dual_add_f32 v46, v8, v58
	v_add_f32_e32 v8, v2, v58
	v_dual_sub_f32 v2, v2, v58 :: v_dual_sub_f32 v3, v3, v59
	s_delay_alu instid0(VALU_DEP_3) | instskip(SKIP_1) | instid1(VALU_DEP_4)
	v_fma_f32 v63, -0.5, v9, v5
	v_add_nc_u32_e32 v58, 0x2c00, v255
	v_fma_f32 v62, -0.5, v8, v4
	s_delay_alu instid0(VALU_DEP_3) | instskip(SKIP_2) | instid1(VALU_DEP_4)
	v_fmamk_f32 v65, v2, 0xbf5db3d7, v63
	v_fmac_f32_e32 v63, 0x3f5db3d7, v2
	v_mul_lo_u16 v2, v48, 3
	v_fmamk_f32 v64, v3, 0x3f5db3d7, v62
	v_fmac_f32_e32 v62, 0xbf5db3d7, v3
	s_delay_alu instid0(VALU_DEP_3) | instskip(NEXT) | instid1(VALU_DEP_1)
	v_and_b32_e32 v2, 0xffff, v2
	v_lshlrev_b32_e32 v66, 3, v2
	ds_load_b64 v[44:45], v255 offset:13104
	ds_load_2addr_b64 v[40:43], v49 offset0:118 offset1:181
	ds_load_2addr_b64 v[32:35], v255 offset0:126 offset1:189
	;; [unrolled: 1-line block ×10, first 2 shown]
	global_wb scope:SCOPE_SE
	s_wait_dscnt 0x0
	s_barrier_signal -1
	s_barrier_wait -1
	global_inv scope:SCOPE_SE
	ds_store_2addr_b64 v66, v[46:47], v[64:65] offset1:1
	ds_store_b64 v66, v[62:63] offset:16
	v_add_f32_e32 v59, v40, v60
	v_dual_add_f32 v46, v6, v40 :: v_dual_add_f32 v47, v7, v41
	v_sub_f32_e32 v64, v41, v61
	v_add_f32_e32 v41, v41, v61
	s_delay_alu instid0(VALU_DEP_4) | instskip(SKIP_2) | instid1(VALU_DEP_4)
	v_fma_f32 v6, -0.5, v59, v6
	v_add_co_u32 v59, s2, v206, 63
	v_dual_add_f32 v46, v46, v60 :: v_dual_add_f32 v47, v47, v61
	v_dual_sub_f32 v60, v40, v60 :: v_dual_fmac_f32 v7, -0.5, v41
	s_delay_alu instid0(VALU_DEP_3) | instskip(SKIP_1) | instid1(VALU_DEP_3)
	v_mul_u32_u24_e32 v61, 3, v59
	v_fmamk_f32 v40, v64, 0x3f5db3d7, v6
	v_dual_fmac_f32 v6, 0xbf5db3d7, v64 :: v_dual_fmamk_f32 v41, v60, 0xbf5db3d7, v7
	v_fmac_f32_e32 v7, 0x3f5db3d7, v60
	s_delay_alu instid0(VALU_DEP_4)
	v_lshlrev_b32_e32 v61, 3, v61
	s_wait_alu 0xf1ff
	v_add_co_ci_u32_e64 v60, null, 0, 0, s2
	ds_store_2addr_b64 v61, v[46:47], v[40:41] offset1:1
	ds_store_b64 v61, v[6:7] offset:16
	v_add_f32_e32 v40, v32, v42
	v_dual_add_f32 v6, v42, v36 :: v_dual_add_f32 v41, v33, v43
	v_dual_add_f32 v7, v43, v37 :: v_dual_sub_f32 v42, v42, v36
	v_sub_f32_e32 v43, v43, v37
	s_delay_alu instid0(VALU_DEP_3) | instskip(SKIP_3) | instid1(VALU_DEP_4)
	v_fma_f32 v6, -0.5, v6, v32
	v_add_f32_e32 v32, v40, v36
	v_add_co_u32 v36, null, 0x7e, v206
	v_fma_f32 v7, -0.5, v7, v33
	v_dual_add_f32 v33, v41, v37 :: v_dual_fmamk_f32 v40, v43, 0x3f5db3d7, v6
	s_delay_alu instid0(VALU_DEP_3) | instskip(NEXT) | instid1(VALU_DEP_3)
	v_mul_u32_u24_e32 v37, 3, v36
	v_dual_fmac_f32 v6, 0xbf5db3d7, v43 :: v_dual_fmamk_f32 v41, v42, 0xbf5db3d7, v7
	s_delay_alu instid0(VALU_DEP_2)
	v_dual_fmac_f32 v7, 0x3f5db3d7, v42 :: v_dual_lshlrev_b32 v42, 3, v37
	v_add_f32_e32 v37, v28, v38
	ds_store_2addr_b64 v42, v[32:33], v[40:41] offset1:1
	ds_store_b64 v42, v[6:7] offset:16
	v_dual_add_f32 v33, v35, v29 :: v_dual_sub_f32 v40, v29, v39
	v_dual_add_f32 v29, v29, v39 :: v_dual_add_f32 v32, v34, v28
	v_sub_f32_e32 v28, v28, v38
	v_fma_f32 v34, -0.5, v37, v34
	s_delay_alu instid0(VALU_DEP_4) | instskip(NEXT) | instid1(VALU_DEP_4)
	v_add_f32_e32 v33, v33, v39
	v_dual_fmac_f32 v35, -0.5, v29 :: v_dual_add_f32 v32, v32, v38
	s_delay_alu instid0(VALU_DEP_3) | instskip(NEXT) | instid1(VALU_DEP_2)
	v_dual_add_f32 v29, v21, v31 :: v_dual_fmamk_f32 v6, v40, 0x3f5db3d7, v34
	v_dual_fmac_f32 v34, 0xbf5db3d7, v40 :: v_dual_fmamk_f32 v7, v28, 0xbf5db3d7, v35
	v_fmac_f32_e32 v35, 0x3f5db3d7, v28
	v_mul_u32_u24_e32 v28, 3, v248
	s_delay_alu instid0(VALU_DEP_1)
	v_lshlrev_b32_e32 v28, 3, v28
	ds_store_2addr_b64 v28, v[32:33], v[6:7] offset1:1
	ds_store_b64 v28, v[34:35] offset:16
	v_dual_add_f32 v7, v31, v25 :: v_dual_add_f32 v6, v30, v24
	scratch_store_b32 off, v28, off offset:468 ; 4-byte Folded Spill
	v_dual_add_f32 v28, v20, v30 :: v_dual_sub_f32 v31, v31, v25
	v_fma_f32 v7, -0.5, v7, v21
	v_add_co_u32 v21, null, 0xfc, v206
	v_sub_f32_e32 v30, v30, v24
	v_fma_f32 v6, -0.5, v6, v20
	v_add_f32_e32 v24, v28, v24
	s_delay_alu instid0(VALU_DEP_4) | instskip(SKIP_3) | instid1(VALU_DEP_4)
	v_mul_u32_u24_e32 v20, 3, v21
	v_add_f32_e32 v25, v29, v25
	v_fmamk_f32 v29, v30, 0xbf5db3d7, v7
	v_dual_fmamk_f32 v28, v31, 0x3f5db3d7, v6 :: v_dual_fmac_f32 v7, 0x3f5db3d7, v30
	v_lshlrev_b32_e32 v30, 3, v20
	v_add_f32_e32 v20, v22, v16
	v_fmac_f32_e32 v6, 0xbf5db3d7, v31
	ds_store_2addr_b64 v30, v[24:25], v[28:29] offset1:1
	v_add_f32_e32 v25, v23, v17
	ds_store_b64 v30, v[6:7] offset:16
	v_add_f32_e32 v24, v20, v26
	v_add_f32_e32 v20, v16, v26
	v_sub_f32_e32 v28, v17, v27
	v_dual_add_f32 v17, v17, v27 :: v_dual_sub_f32 v16, v16, v26
	v_add_f32_e32 v25, v25, v27
	s_delay_alu instid0(VALU_DEP_4) | instskip(SKIP_1) | instid1(VALU_DEP_4)
	v_fma_f32 v22, -0.5, v20, v22
	v_add_co_u32 v20, null, 0x13b, v206
	v_fmac_f32_e32 v23, -0.5, v17
	s_delay_alu instid0(VALU_DEP_3) | instskip(NEXT) | instid1(VALU_DEP_2)
	v_dual_add_f32 v17, v9, v19 :: v_dual_fmamk_f32 v6, v28, 0x3f5db3d7, v22
	v_dual_fmac_f32 v22, 0xbf5db3d7, v28 :: v_dual_fmamk_f32 v7, v16, 0xbf5db3d7, v23
	v_fmac_f32_e32 v23, 0x3f5db3d7, v16
	v_mul_u32_u24_e32 v16, 3, v20
	s_delay_alu instid0(VALU_DEP_1)
	v_lshlrev_b32_e32 v16, 3, v16
	ds_store_2addr_b64 v16, v[24:25], v[6:7] offset1:1
	ds_store_b64 v16, v[22:23] offset:16
	v_add_f32_e32 v7, v19, v13
	scratch_store_b32 off, v16, off offset:460 ; 4-byte Folded Spill
	v_dual_add_f32 v16, v8, v18 :: v_dual_and_b32 v23, 0xffff, v21
	v_add_f32_e32 v6, v18, v12
	v_sub_f32_e32 v18, v18, v12
	v_fma_f32 v7, -0.5, v7, v9
	v_sub_f32_e32 v19, v19, v13
	v_add_f32_e32 v9, v17, v13
	v_fma_f32 v6, -0.5, v6, v8
	s_delay_alu instid0(VALU_DEP_4) | instskip(SKIP_2) | instid1(VALU_DEP_4)
	v_dual_add_f32 v8, v16, v12 :: v_dual_fmamk_f32 v13, v18, 0xbf5db3d7, v7
	v_fmac_f32_e32 v7, 0x3f5db3d7, v18
	v_add_co_u32 v18, null, 0x17a, v206
	v_fmamk_f32 v12, v19, 0x3f5db3d7, v6
	v_fmac_f32_e32 v6, 0xbf5db3d7, v19
	v_add_co_u32 v19, null, 0x1b9, v206
	s_delay_alu instid0(VALU_DEP_4) | instskip(SKIP_1) | instid1(VALU_DEP_3)
	v_mul_u32_u24_e32 v16, 3, v18
	v_add_co_u32 v24, null, 0x1f8, v206
	v_and_b32_e32 v25, 0xffff, v19
	s_delay_alu instid0(VALU_DEP_3) | instskip(NEXT) | instid1(VALU_DEP_3)
	v_lshlrev_b32_e32 v16, 3, v16
	v_and_b32_e32 v27, 0xffff, v24
	ds_store_2addr_b64 v16, v[8:9], v[12:13] offset1:1
	ds_store_b64 v16, v[6:7] offset:16
	v_dual_add_f32 v8, v10, v2 :: v_dual_add_f32 v9, v11, v3
	v_dual_add_f32 v12, v2, v14 :: v_dual_sub_f32 v13, v3, v15
	s_delay_alu instid0(VALU_DEP_2) | instskip(SKIP_1) | instid1(VALU_DEP_3)
	v_dual_add_f32 v3, v3, v15 :: v_dual_add_f32 v8, v8, v14
	v_sub_f32_e32 v14, v2, v14
	v_fma_f32 v10, -0.5, v12, v10
	v_mul_u32_u24_e32 v6, 3, v19
	s_delay_alu instid0(VALU_DEP_4) | instskip(SKIP_3) | instid1(VALU_DEP_4)
	v_fmac_f32_e32 v11, -0.5, v3
	v_add_f32_e32 v9, v9, v15
	v_sub_f32_e32 v7, v5, v45
	v_fmamk_f32 v2, v13, 0x3f5db3d7, v10
	v_dual_fmac_f32 v10, 0xbf5db3d7, v13 :: v_dual_fmamk_f32 v3, v14, 0xbf5db3d7, v11
	v_fmac_f32_e32 v11, 0x3f5db3d7, v14
	v_lshlrev_b32_e32 v6, 3, v6
	s_clause 0x1
	scratch_store_b32 off, v42, off offset:464
	scratch_store_b32 off, v6, off offset:452
	ds_store_2addr_b64 v6, v[8:9], v[2:3] offset1:1
	ds_store_b64 v6, v[10:11] offset:16
	v_dual_add_f32 v6, v4, v44 :: v_dual_add_f32 v3, v1, v5
	v_dual_add_f32 v5, v5, v45 :: v_dual_add_f32 v2, v0, v4
	v_sub_f32_e32 v8, v4, v44
	s_delay_alu instid0(VALU_DEP_3) | instskip(SKIP_1) | instid1(VALU_DEP_4)
	v_fma_f32 v0, -0.5, v6, v0
	v_mul_u32_u24_e32 v6, 3, v24
	v_dual_fmac_f32 v1, -0.5, v5 :: v_dual_add_f32 v2, v2, v44
	v_add_f32_e32 v3, v3, v45
	s_delay_alu instid0(VALU_DEP_4) | instskip(NEXT) | instid1(VALU_DEP_3)
	v_fmamk_f32 v4, v7, 0x3f5db3d7, v0
	v_dual_fmac_f32 v0, 0xbf5db3d7, v7 :: v_dual_fmamk_f32 v5, v8, 0xbf5db3d7, v1
	v_dual_fmac_f32 v1, 0x3f5db3d7, v8 :: v_dual_lshlrev_b32 v6, 3, v6
	s_clause 0x4
	scratch_store_b32 off, v66, off offset:236
	scratch_store_b32 off, v61, off offset:472
	;; [unrolled: 1-line block ×5, first 2 shown]
	ds_store_2addr_b64 v6, v[2:3], v[4:5] offset1:1
	ds_store_b64 v6, v[0:1] offset:16
	v_and_b32_e32 v0, 0xff, v48
	global_wb scope:SCOPE_SE
	s_wait_storecnt_dscnt 0x0
	s_barrier_signal -1
	s_barrier_wait -1
	global_inv scope:SCOPE_SE
	v_mul_lo_u16 v1, 0xab, v0
	v_and_b32_e32 v9, 0xff, v36
	v_and_b32_e32 v8, 0xff, v248
	s_delay_alu instid0(VALU_DEP_3) | instskip(SKIP_1) | instid1(VALU_DEP_1)
	v_lshrrev_b16 v10, 9, v1
	v_and_b32_e32 v1, 0xff, v59
	v_mul_lo_u16 v2, 0xab, v1
	s_delay_alu instid0(VALU_DEP_1) | instskip(NEXT) | instid1(VALU_DEP_4)
	v_lshrrev_b16 v39, 9, v2
	v_mul_lo_u16 v2, v10, 3
	s_delay_alu instid0(VALU_DEP_2) | instskip(NEXT) | instid1(VALU_DEP_2)
	v_mul_lo_u16 v3, v39, 3
	v_sub_nc_u16 v2, v48, v2
	s_delay_alu instid0(VALU_DEP_2) | instskip(NEXT) | instid1(VALU_DEP_2)
	v_sub_nc_u16 v3, v59, v3
	v_and_b32_e32 v11, 0xff, v2
	s_delay_alu instid0(VALU_DEP_2) | instskip(NEXT) | instid1(VALU_DEP_2)
	v_and_b32_e32 v40, 0xff, v3
	v_lshlrev_b32_e32 v2, 4, v11
	s_delay_alu instid0(VALU_DEP_2)
	v_lshlrev_b32_e32 v3, 4, v40
	s_clause 0x1
	global_load_b128 v[140:143], v2, s[10:11]
	global_load_b128 v[144:147], v3, s[10:11]
	ds_load_2addr_b64 v[2:5], v50 offset0:110 offset1:173
	s_wait_loadcnt_dscnt 0x100
	v_mul_f32_e32 v6, v3, v143
	v_mul_f32_e32 v13, v2, v143
	s_wait_loadcnt 0x0
	v_mul_f32_e32 v42, v4, v147
	s_delay_alu instid0(VALU_DEP_3) | instskip(NEXT) | instid1(VALU_DEP_3)
	v_fma_f32 v12, v2, v142, -v6
	v_dual_mul_f32 v2, v5, v147 :: v_dual_fmac_f32 v13, v3, v142
	s_delay_alu instid0(VALU_DEP_3) | instskip(SKIP_1) | instid1(VALU_DEP_3)
	v_fmac_f32_e32 v42, v5, v146
	v_and_b32_e32 v22, 0xffff, v20
	v_fma_f32 v41, v4, v146, -v2
	v_mul_lo_u16 v2, 0xab, v9
	s_delay_alu instid0(VALU_DEP_1) | instskip(SKIP_1) | instid1(VALU_DEP_1)
	v_lshrrev_b16 v43, 9, v2
	v_mul_lo_u16 v2, 0xab, v8
	v_lshrrev_b16 v44, 9, v2
	s_delay_alu instid0(VALU_DEP_3) | instskip(NEXT) | instid1(VALU_DEP_2)
	v_mul_lo_u16 v2, v43, 3
	v_mul_lo_u16 v3, v44, 3
	s_delay_alu instid0(VALU_DEP_2) | instskip(NEXT) | instid1(VALU_DEP_2)
	v_sub_nc_u16 v2, v36, v2
	v_sub_nc_u16 v3, v248, v3
	s_delay_alu instid0(VALU_DEP_2) | instskip(NEXT) | instid1(VALU_DEP_2)
	v_and_b32_e32 v45, 0xff, v2
	v_and_b32_e32 v46, 0xff, v3
	ds_load_2addr_b64 v[2:5], v49 offset0:118 offset1:181
	s_wait_dscnt 0x0
	v_mul_f32_e32 v6, v3, v145
	v_mul_f32_e32 v61, v2, v145
	s_delay_alu instid0(VALU_DEP_2) | instskip(NEXT) | instid1(VALU_DEP_2)
	v_fma_f32 v47, v2, v144, -v6
	v_dual_fmac_f32 v61, v3, v144 :: v_dual_lshlrev_b32 v2, 4, v45
	v_lshlrev_b32_e32 v3, 4, v46
	s_clause 0x1
	global_load_b128 v[148:151], v2, s[10:11]
	global_load_b128 v[152:155], v3, s[10:11]
	v_and_b32_e32 v26, 0xffff, v18
	s_wait_loadcnt 0x1
	v_mul_f32_e32 v2, v5, v149
	v_mul_f32_e32 v63, v4, v149
	s_delay_alu instid0(VALU_DEP_2) | instskip(NEXT) | instid1(VALU_DEP_2)
	v_fma_f32 v62, v4, v148, -v2
	v_fmac_f32_e32 v63, v5, v148
	ds_load_2addr_b64 v[2:5], v55 offset0:108 offset1:171
	s_wait_dscnt 0x0
	v_mul_f32_e32 v6, v3, v151
	v_mul_f32_e32 v65, v2, v151
	s_wait_loadcnt 0x0
	v_mul_f32_e32 v67, v4, v155
	s_delay_alu instid0(VALU_DEP_3) | instskip(NEXT) | instid1(VALU_DEP_3)
	v_fma_f32 v64, v2, v150, -v6
	v_dual_mul_f32 v2, v5, v155 :: v_dual_fmac_f32 v65, v3, v150
	s_delay_alu instid0(VALU_DEP_3) | instskip(NEXT) | instid1(VALU_DEP_2)
	v_fmac_f32_e32 v67, v5, v154
	v_fma_f32 v66, v4, v154, -v2
	v_mul_u32_u24_e32 v2, 0xaaab, v23
	s_delay_alu instid0(VALU_DEP_1) | instskip(SKIP_1) | instid1(VALU_DEP_1)
	v_lshrrev_b32_e32 v68, 17, v2
	v_mul_u32_u24_e32 v2, 0xaaab, v22
	v_lshrrev_b32_e32 v69, 17, v2
	s_delay_alu instid0(VALU_DEP_3) | instskip(NEXT) | instid1(VALU_DEP_1)
	v_mul_lo_u16 v2, v68, 3
	v_sub_nc_u16 v70, v21, v2
	s_delay_alu instid0(VALU_DEP_3) | instskip(NEXT) | instid1(VALU_DEP_1)
	v_mul_lo_u16 v2, v69, 3
	v_sub_nc_u16 v71, v20, v2
	s_delay_alu instid0(VALU_DEP_3) | instskip(NEXT) | instid1(VALU_DEP_2)
	v_lshlrev_b16 v2, 1, v70
	v_lshlrev_b16 v3, 1, v71
	s_delay_alu instid0(VALU_DEP_2) | instskip(NEXT) | instid1(VALU_DEP_2)
	v_and_b32_e32 v2, 0xffff, v2
	v_and_b32_e32 v3, 0xffff, v3
	s_delay_alu instid0(VALU_DEP_2) | instskip(NEXT) | instid1(VALU_DEP_2)
	v_lshlrev_b32_e32 v6, 3, v2
	v_lshlrev_b32_e32 v7, 3, v3
	ds_load_2addr_b64 v[2:5], v57 offset0:116 offset1:179
	s_clause 0x1
	global_load_b128 v[160:163], v6, s[10:11]
	global_load_b128 v[164:167], v7, s[10:11]
	s_wait_dscnt 0x0
	v_mul_f32_e32 v14, v3, v153
	v_mul_f32_e32 v73, v2, v153
	s_delay_alu instid0(VALU_DEP_2) | instskip(SKIP_1) | instid1(VALU_DEP_2)
	v_fma_f32 v72, v2, v152, -v14
	s_wait_loadcnt 0x1
	v_dual_fmac_f32 v73, v3, v152 :: v_dual_mul_f32 v2, v5, v161
	v_mul_f32_e32 v75, v4, v161
	s_delay_alu instid0(VALU_DEP_2) | instskip(NEXT) | instid1(VALU_DEP_2)
	v_fma_f32 v74, v4, v160, -v2
	v_fmac_f32_e32 v75, v5, v160
	ds_load_2addr_b64 v[2:5], v51 offset0:106 offset1:169
	s_wait_dscnt 0x0
	v_mul_f32_e32 v6, v3, v163
	v_mul_f32_e32 v77, v2, v163
	s_wait_loadcnt 0x0
	v_mul_f32_e32 v79, v4, v167
	s_delay_alu instid0(VALU_DEP_3) | instskip(NEXT) | instid1(VALU_DEP_3)
	v_fma_f32 v76, v2, v162, -v6
	v_dual_mul_f32 v2, v5, v167 :: v_dual_fmac_f32 v77, v3, v162
	s_delay_alu instid0(VALU_DEP_3) | instskip(SKIP_1) | instid1(VALU_DEP_3)
	v_fmac_f32_e32 v79, v5, v166
	v_and_b32_e32 v10, 0xffff, v10
	v_fma_f32 v78, v4, v166, -v2
	v_mul_u32_u24_e32 v2, 0xaaab, v26
	s_delay_alu instid0(VALU_DEP_3) | instskip(NEXT) | instid1(VALU_DEP_2)
	v_mul_u32_u24_e32 v10, 9, v10
	v_lshrrev_b32_e32 v80, 17, v2
	v_mul_u32_u24_e32 v2, 0xaaab, v25
	s_delay_alu instid0(VALU_DEP_3) | instskip(NEXT) | instid1(VALU_DEP_2)
	v_add_lshl_u32 v100, v10, v11, 3
	v_lshrrev_b32_e32 v81, 17, v2
	s_delay_alu instid0(VALU_DEP_4) | instskip(NEXT) | instid1(VALU_DEP_1)
	v_mul_lo_u16 v2, v80, 3
	v_sub_nc_u16 v82, v18, v2
	s_delay_alu instid0(VALU_DEP_3) | instskip(NEXT) | instid1(VALU_DEP_1)
	v_mul_lo_u16 v2, v81, 3
	v_sub_nc_u16 v83, v19, v2
	s_delay_alu instid0(VALU_DEP_3) | instskip(NEXT) | instid1(VALU_DEP_2)
	v_lshlrev_b16 v2, 1, v82
	v_lshlrev_b16 v3, 1, v83
	s_delay_alu instid0(VALU_DEP_2) | instskip(NEXT) | instid1(VALU_DEP_2)
	v_and_b32_e32 v2, 0xffff, v2
	v_and_b32_e32 v3, 0xffff, v3
	s_delay_alu instid0(VALU_DEP_2) | instskip(NEXT) | instid1(VALU_DEP_2)
	v_lshlrev_b32_e32 v6, 3, v2
	v_lshlrev_b32_e32 v7, 3, v3
	ds_load_2addr_b64 v[2:5], v52 offset0:114 offset1:177
	s_clause 0x1
	global_load_b128 v[168:171], v6, s[10:11]
	global_load_b128 v[172:175], v7, s[10:11]
	s_wait_dscnt 0x0
	v_mul_f32_e32 v14, v3, v165
	v_mul_f32_e32 v85, v2, v165
	s_delay_alu instid0(VALU_DEP_2) | instskip(SKIP_1) | instid1(VALU_DEP_2)
	v_fma_f32 v84, v2, v164, -v14
	s_wait_loadcnt 0x1
	v_dual_fmac_f32 v85, v3, v164 :: v_dual_mul_f32 v2, v5, v169
	v_mul_f32_e32 v87, v4, v169
	s_delay_alu instid0(VALU_DEP_2) | instskip(NEXT) | instid1(VALU_DEP_2)
	v_fma_f32 v86, v4, v168, -v2
	v_fmac_f32_e32 v87, v5, v168
	ds_load_2addr_b64 v[2:5], v58 offset0:104 offset1:167
	s_wait_dscnt 0x0
	v_mul_f32_e32 v6, v3, v171
	v_mul_f32_e32 v89, v2, v171
	s_wait_loadcnt 0x0
	v_mul_f32_e32 v91, v4, v175
	s_delay_alu instid0(VALU_DEP_3) | instskip(NEXT) | instid1(VALU_DEP_3)
	v_fma_f32 v88, v2, v170, -v6
	v_dual_mul_f32 v2, v5, v175 :: v_dual_fmac_f32 v89, v3, v170
	s_delay_alu instid0(VALU_DEP_3) | instskip(NEXT) | instid1(VALU_DEP_2)
	v_fmac_f32_e32 v91, v5, v174
	v_fma_f32 v90, v4, v174, -v2
	v_mul_u32_u24_e32 v2, 0xaaab, v27
	s_delay_alu instid0(VALU_DEP_1) | instskip(NEXT) | instid1(VALU_DEP_1)
	v_lshrrev_b32_e32 v92, 17, v2
	v_mul_lo_u16 v2, v92, 3
	s_delay_alu instid0(VALU_DEP_1) | instskip(NEXT) | instid1(VALU_DEP_1)
	v_sub_nc_u16 v93, v24, v2
	v_lshlrev_b16 v2, 1, v93
	s_delay_alu instid0(VALU_DEP_1) | instskip(NEXT) | instid1(VALU_DEP_1)
	v_and_b32_e32 v2, 0xffff, v2
	v_lshlrev_b32_e32 v6, 3, v2
	ds_load_2addr_b64 v[2:5], v53 offset0:112 offset1:175
	global_load_b128 v[176:179], v6, s[10:11]
	s_wait_dscnt 0x0
	v_mul_f32_e32 v7, v3, v173
	v_mul_f32_e32 v95, v2, v173
	s_delay_alu instid0(VALU_DEP_2) | instskip(SKIP_1) | instid1(VALU_DEP_2)
	v_fma_f32 v94, v2, v172, -v7
	s_wait_loadcnt 0x0
	v_dual_fmac_f32 v95, v3, v172 :: v_dual_mul_f32 v2, v5, v177
	v_mul_f32_e32 v97, v4, v177
	s_delay_alu instid0(VALU_DEP_2) | instskip(NEXT) | instid1(VALU_DEP_2)
	v_fma_f32 v96, v4, v176, -v2
	v_fmac_f32_e32 v97, v5, v176
	ds_load_2addr_b64 v[2:5], v54 offset0:120 offset1:183
	s_wait_dscnt 0x0
	v_mul_f32_e32 v6, v5, v141
	v_mul_f32_e32 v15, v4, v141
	s_delay_alu instid0(VALU_DEP_2) | instskip(NEXT) | instid1(VALU_DEP_2)
	v_fma_f32 v14, v4, v140, -v6
	v_fmac_f32_e32 v15, v5, v140
	ds_load_2addr_b64 v[4:7], v255 offset1:63
	v_dual_sub_f32 v99, v14, v12 :: v_dual_sub_f32 v98, v15, v13
	s_wait_dscnt 0x0
	v_dual_add_f32 v16, v5, v15 :: v_dual_add_f32 v15, v15, v13
	s_delay_alu instid0(VALU_DEP_1) | instskip(SKIP_1) | instid1(VALU_DEP_3)
	v_add_f32_e32 v33, v16, v13
	v_add_f32_e32 v13, v4, v14
	v_fma_f32 v5, -0.5, v15, v5
	s_delay_alu instid0(VALU_DEP_2) | instskip(SKIP_1) | instid1(VALU_DEP_3)
	v_add_f32_e32 v32, v13, v12
	v_add_f32_e32 v13, v14, v12
	v_fmamk_f32 v35, v99, 0xbf5db3d7, v5
	v_fmac_f32_e32 v5, 0x3f5db3d7, v99
	s_delay_alu instid0(VALU_DEP_3)
	v_fma_f32 v4, -0.5, v13, v4
	ds_load_b64 v[37:38], v255 offset:13104
	ds_load_2addr_b64 v[10:13], v255 offset0:126 offset1:189
	ds_load_2addr_b64 v[14:17], v56 offset0:124 offset1:187
	;; [unrolled: 1-line block ×3, first 2 shown]
	global_wb scope:SCOPE_SE
	s_wait_dscnt 0x0
	s_barrier_signal -1
	s_barrier_wait -1
	v_fmamk_f32 v34, v98, 0x3f5db3d7, v4
	global_inv scope:SCOPE_SE
	v_fmac_f32_e32 v4, 0xbf5db3d7, v98
	ds_store_2addr_b64 v100, v[32:33], v[34:35] offset1:3
	v_add_f32_e32 v32, v61, v42
	ds_store_b64 v100, v[4:5] offset:48
	v_add_f32_e32 v4, v7, v61
	v_dual_add_f32 v33, v47, v41 :: v_dual_sub_f32 v34, v61, v42
	v_dual_fmac_f32 v7, -0.5, v32 :: v_dual_and_b32 v32, 0xffff, v39
	s_delay_alu instid0(VALU_DEP_3) | instskip(SKIP_1) | instid1(VALU_DEP_4)
	v_dual_add_f32 v5, v4, v42 :: v_dual_add_f32 v4, v6, v47
	v_sub_f32_e32 v35, v47, v41
	v_fma_f32 v6, -0.5, v33, v6
	s_delay_alu instid0(VALU_DEP_4) | instskip(NEXT) | instid1(VALU_DEP_3)
	v_mul_u32_u24_e32 v32, 9, v32
	v_dual_add_f32 v4, v4, v41 :: v_dual_fmamk_f32 v33, v35, 0xbf5db3d7, v7
	v_fmac_f32_e32 v7, 0x3f5db3d7, v35
	s_delay_alu instid0(VALU_DEP_3)
	v_add_lshl_u32 v39, v32, v40, 3
	v_fmamk_f32 v32, v34, 0x3f5db3d7, v6
	v_fmac_f32_e32 v6, 0xbf5db3d7, v34
	ds_store_2addr_b64 v39, v[4:5], v[32:33] offset1:3
	ds_store_b64 v39, v[6:7] offset:48
	v_add_f32_e32 v4, v11, v63
	v_dual_add_f32 v6, v62, v64 :: v_dual_add_f32 v7, v63, v65
	v_dual_sub_f32 v32, v63, v65 :: v_dual_sub_f32 v33, v62, v64
	s_delay_alu instid0(VALU_DEP_3) | instskip(NEXT) | instid1(VALU_DEP_3)
	v_dual_add_f32 v5, v4, v65 :: v_dual_add_f32 v4, v10, v62
	v_fma_f32 v6, -0.5, v6, v10
	v_and_b32_e32 v10, 0xffff, v43
	v_fma_f32 v7, -0.5, v7, v11
	s_delay_alu instid0(VALU_DEP_4) | instskip(NEXT) | instid1(VALU_DEP_3)
	v_add_f32_e32 v4, v4, v64
	v_mul_u32_u24_e32 v10, 9, v10
	s_delay_alu instid0(VALU_DEP_3) | instskip(SKIP_1) | instid1(VALU_DEP_3)
	v_fmamk_f32 v11, v33, 0xbf5db3d7, v7
	v_fmac_f32_e32 v7, 0x3f5db3d7, v33
	v_add_lshl_u32 v34, v10, v45, 3
	v_fmamk_f32 v10, v32, 0x3f5db3d7, v6
	v_fmac_f32_e32 v6, 0xbf5db3d7, v32
	ds_store_2addr_b64 v34, v[4:5], v[10:11] offset1:3
	ds_store_b64 v34, v[6:7] offset:48
	v_add_f32_e32 v6, v73, v67
	v_dual_add_f32 v4, v13, v73 :: v_dual_add_f32 v7, v72, v66
	v_dual_sub_f32 v10, v73, v67 :: v_dual_sub_f32 v11, v72, v66
	s_delay_alu instid0(VALU_DEP_3) | instskip(NEXT) | instid1(VALU_DEP_3)
	v_dual_fmac_f32 v13, -0.5, v6 :: v_dual_and_b32 v6, 0xffff, v44
	v_add_f32_e32 v5, v4, v67
	v_add_f32_e32 v4, v12, v72
	v_fma_f32 v12, -0.5, v7, v12
	s_delay_alu instid0(VALU_DEP_4) | instskip(SKIP_1) | instid1(VALU_DEP_4)
	v_fmamk_f32 v7, v11, 0xbf5db3d7, v13
	v_mul_u32_u24_e32 v6, 9, v6
	v_dual_fmac_f32 v13, 0x3f5db3d7, v11 :: v_dual_add_f32 v4, v4, v66
	s_delay_alu instid0(VALU_DEP_2)
	v_add_lshl_u32 v32, v6, v46, 3
	v_fmamk_f32 v6, v10, 0x3f5db3d7, v12
	v_fmac_f32_e32 v12, 0xbf5db3d7, v10
	v_mad_u16 v10, v68, 9, v70
	ds_store_2addr_b64 v32, v[4:5], v[6:7] offset1:3
	v_add_f32_e32 v4, v15, v75
	v_dual_add_f32 v7, v75, v77 :: v_dual_add_f32 v6, v74, v76
	ds_store_b64 v32, v[12:13] offset:48
	v_sub_f32_e32 v12, v75, v77
	v_dual_add_f32 v5, v4, v77 :: v_dual_add_f32 v4, v14, v74
	v_sub_f32_e32 v13, v74, v76
	v_fma_f32 v6, -0.5, v6, v14
	v_fma_f32 v7, -0.5, v7, v15
	v_and_b32_e32 v10, 0xffff, v10
	s_delay_alu instid0(VALU_DEP_2) | instskip(NEXT) | instid1(VALU_DEP_2)
	v_dual_add_f32 v4, v4, v76 :: v_dual_fmamk_f32 v11, v13, 0xbf5db3d7, v7
	v_lshlrev_b32_e32 v14, 3, v10
	v_fmamk_f32 v10, v12, 0x3f5db3d7, v6
	v_fmac_f32_e32 v6, 0xbf5db3d7, v12
	v_dual_fmac_f32 v7, 0x3f5db3d7, v13 :: v_dual_sub_f32 v12, v84, v78
	v_sub_f32_e32 v13, v86, v88
	ds_store_2addr_b64 v14, v[4:5], v[10:11] offset1:3
	v_add_f32_e32 v4, v17, v85
	ds_store_b64 v14, v[6:7] offset:48
	v_mad_u16 v6, v69, 9, v71
	v_add_f32_e32 v7, v85, v79
	v_dual_add_f32 v11, v84, v78 :: v_dual_sub_f32 v10, v85, v79
	v_add_f32_e32 v5, v4, v79
	s_delay_alu instid0(VALU_DEP_3) | instskip(NEXT) | instid1(VALU_DEP_3)
	v_dual_add_f32 v4, v16, v84 :: v_dual_fmac_f32 v17, -0.5, v7
	v_fma_f32 v16, -0.5, v11, v16
	v_and_b32_e32 v6, 0xffff, v6
	s_delay_alu instid0(VALU_DEP_3) | instskip(NEXT) | instid1(VALU_DEP_4)
	v_add_f32_e32 v4, v4, v78
	v_fmamk_f32 v7, v12, 0xbf5db3d7, v17
	v_fmac_f32_e32 v17, 0x3f5db3d7, v12
	s_delay_alu instid0(VALU_DEP_4)
	v_dual_fmamk_f32 v6, v10, 0x3f5db3d7, v16 :: v_dual_lshlrev_b32 v11, 3, v6
	v_fmac_f32_e32 v16, 0xbf5db3d7, v10
	v_mad_u16 v10, v80, 9, v82
	v_sub_f32_e32 v12, v87, v89
	s_clause 0x2
	scratch_store_b32 off, v34, off offset:420
	scratch_store_b32 off, v14, off offset:408
	scratch_store_b32 off, v11, off offset:404
	ds_store_2addr_b64 v11, v[4:5], v[6:7] offset1:3
	v_dual_add_f32 v4, v29, v87 :: v_dual_add_f32 v7, v87, v89
	v_add_f32_e32 v6, v86, v88
	v_and_b32_e32 v10, 0xffff, v10
	ds_store_b64 v11, v[16:17] offset:48
	v_add_f32_e32 v5, v4, v89
	v_add_f32_e32 v4, v28, v86
	v_fma_f32 v6, -0.5, v6, v28
	v_fma_f32 v7, -0.5, v7, v29
	v_lshlrev_b32_e32 v14, 3, v10
	s_delay_alu instid0(VALU_DEP_4) | instskip(NEXT) | instid1(VALU_DEP_4)
	v_add_f32_e32 v4, v4, v88
	v_fmamk_f32 v10, v12, 0x3f5db3d7, v6
	s_delay_alu instid0(VALU_DEP_4)
	v_dual_fmamk_f32 v11, v13, 0xbf5db3d7, v7 :: v_dual_fmac_f32 v6, 0xbf5db3d7, v12
	v_dual_fmac_f32 v7, 0x3f5db3d7, v13 :: v_dual_sub_f32 v12, v94, v90
	ds_store_2addr_b64 v14, v[4:5], v[10:11] offset1:3
	v_add_f32_e32 v4, v31, v95
	ds_store_b64 v14, v[6:7] offset:48
	v_mad_u16 v6, v81, 9, v83
	v_add_f32_e32 v7, v95, v91
	v_dual_add_f32 v11, v94, v90 :: v_dual_sub_f32 v10, v95, v91
	v_dual_add_f32 v5, v4, v91 :: v_dual_add_f32 v4, v30, v94
	s_delay_alu instid0(VALU_DEP_3) | instskip(NEXT) | instid1(VALU_DEP_3)
	v_fmac_f32_e32 v31, -0.5, v7
	v_fma_f32 v30, -0.5, v11, v30
	v_and_b32_e32 v6, 0xffff, v6
	s_delay_alu instid0(VALU_DEP_4) | instskip(NEXT) | instid1(VALU_DEP_4)
	v_add_f32_e32 v4, v4, v90
	v_fmamk_f32 v7, v12, 0xbf5db3d7, v31
	v_fmac_f32_e32 v31, 0x3f5db3d7, v12
	s_delay_alu instid0(VALU_DEP_4)
	v_dual_fmamk_f32 v6, v10, 0x3f5db3d7, v30 :: v_dual_lshlrev_b32 v11, 3, v6
	v_fmac_f32_e32 v30, 0xbf5db3d7, v10
	s_clause 0x2
	scratch_store_b32 off, v100, off offset:416
	scratch_store_b32 off, v14, off offset:400
	;; [unrolled: 1-line block ×3, first 2 shown]
	ds_store_2addr_b64 v11, v[4:5], v[6:7] offset1:3
	v_dual_mul_f32 v4, v38, v179 :: v_dual_add_f32 v5, v3, v97
	ds_store_b64 v11, v[30:31] offset:48
	v_mad_u16 v7, v92, 9, v93
	v_fma_f32 v6, v37, v178, -v4
	v_mul_f32_e32 v4, v37, v179
	s_delay_alu instid0(VALU_DEP_2) | instskip(NEXT) | instid1(VALU_DEP_2)
	v_add_f32_e32 v12, v96, v6
	v_fmac_f32_e32 v4, v38, v178
	s_delay_alu instid0(VALU_DEP_1) | instskip(SKIP_4) | instid1(VALU_DEP_2)
	v_dual_sub_f32 v13, v96, v6 :: v_dual_sub_f32 v10, v97, v4
	v_add_f32_e32 v11, v97, v4
	v_add_f32_e32 v5, v5, v4
	;; [unrolled: 1-line block ×3, first 2 shown]
	v_fma_f32 v2, -0.5, v12, v2
	v_dual_fmac_f32 v3, -0.5, v11 :: v_dual_add_f32 v4, v4, v6
	v_and_b32_e32 v6, 0xffff, v7
	s_delay_alu instid0(VALU_DEP_2) | instskip(SKIP_1) | instid1(VALU_DEP_3)
	v_fmamk_f32 v7, v13, 0xbf5db3d7, v3
	v_fmac_f32_e32 v3, 0x3f5db3d7, v13
	v_dual_fmamk_f32 v6, v10, 0x3f5db3d7, v2 :: v_dual_lshlrev_b32 v11, 3, v6
	v_fmac_f32_e32 v2, 0xbf5db3d7, v10
	s_clause 0x2
	scratch_store_b32 off, v39, off offset:424
	scratch_store_b32 off, v32, off offset:412
	;; [unrolled: 1-line block ×3, first 2 shown]
	ds_store_2addr_b64 v11, v[4:5], v[6:7] offset1:3
	ds_store_b64 v11, v[2:3] offset:48
	v_mul_lo_u16 v2, v0, 57
	global_wb scope:SCOPE_SE
	s_wait_storecnt_dscnt 0x0
	s_barrier_signal -1
	s_barrier_wait -1
	global_inv scope:SCOPE_SE
	v_lshrrev_b16 v12, 9, v2
	v_mul_lo_u16 v2, v1, 57
	v_mul_lo_u16 v1, v1, 19
	;; [unrolled: 1-line block ×3, first 2 shown]
	s_delay_alu instid0(VALU_DEP_3) | instskip(SKIP_1) | instid1(VALU_DEP_2)
	v_lshrrev_b16 v39, 9, v2
	v_mul_lo_u16 v2, v12, 9
	v_mul_lo_u16 v3, v39, 9
	s_delay_alu instid0(VALU_DEP_2) | instskip(NEXT) | instid1(VALU_DEP_2)
	v_sub_nc_u16 v2, v48, v2
	v_sub_nc_u16 v3, v59, v3
	s_delay_alu instid0(VALU_DEP_2) | instskip(NEXT) | instid1(VALU_DEP_2)
	v_and_b32_e32 v13, 0xff, v2
	v_and_b32_e32 v40, 0xff, v3
	s_delay_alu instid0(VALU_DEP_2) | instskip(NEXT) | instid1(VALU_DEP_2)
	v_lshlrev_b32_e32 v2, 4, v13
	v_lshlrev_b32_e32 v3, 4, v40
	s_clause 0x1
	global_load_b128 v[104:107], v2, s[10:11] offset:48
	global_load_b128 v[108:111], v3, s[10:11] offset:48
	ds_load_2addr_b64 v[2:5], v50 offset0:110 offset1:173
	s_wait_loadcnt_dscnt 0x100
	v_mul_f32_e32 v6, v3, v107
	v_mul_f32_e32 v15, v2, v107
	s_wait_loadcnt 0x0
	v_mul_f32_e32 v42, v4, v111
	s_delay_alu instid0(VALU_DEP_3) | instskip(NEXT) | instid1(VALU_DEP_3)
	v_fma_f32 v14, v2, v106, -v6
	v_dual_mul_f32 v2, v5, v111 :: v_dual_fmac_f32 v15, v3, v106
	s_delay_alu instid0(VALU_DEP_3) | instskip(NEXT) | instid1(VALU_DEP_2)
	v_fmac_f32_e32 v42, v5, v110
	v_fma_f32 v41, v4, v110, -v2
	v_mul_lo_u16 v2, v9, 57
	s_delay_alu instid0(VALU_DEP_1) | instskip(SKIP_1) | instid1(VALU_DEP_1)
	v_lshrrev_b16 v43, 9, v2
	v_mul_lo_u16 v2, v8, 57
	v_lshrrev_b16 v44, 9, v2
	s_delay_alu instid0(VALU_DEP_3) | instskip(NEXT) | instid1(VALU_DEP_2)
	v_mul_lo_u16 v2, v43, 9
	v_mul_lo_u16 v3, v44, 9
	s_delay_alu instid0(VALU_DEP_2) | instskip(NEXT) | instid1(VALU_DEP_2)
	v_sub_nc_u16 v2, v36, v2
	v_sub_nc_u16 v3, v248, v3
	s_delay_alu instid0(VALU_DEP_2) | instskip(NEXT) | instid1(VALU_DEP_2)
	v_and_b32_e32 v45, 0xff, v2
	v_and_b32_e32 v46, 0xff, v3
	ds_load_2addr_b64 v[2:5], v49 offset0:118 offset1:181
	s_wait_dscnt 0x0
	v_mul_f32_e32 v6, v3, v109
	v_mul_f32_e32 v61, v2, v109
	s_delay_alu instid0(VALU_DEP_2) | instskip(NEXT) | instid1(VALU_DEP_2)
	v_fma_f32 v47, v2, v108, -v6
	v_dual_fmac_f32 v61, v3, v108 :: v_dual_lshlrev_b32 v2, 4, v45
	v_lshlrev_b32_e32 v3, 4, v46
	s_clause 0x1
	global_load_b128 v[112:115], v2, s[10:11] offset:48
	global_load_b128 v[116:119], v3, s[10:11] offset:48
	s_wait_loadcnt 0x1
	v_mul_f32_e32 v2, v5, v113
	v_mul_f32_e32 v63, v4, v113
	s_delay_alu instid0(VALU_DEP_2) | instskip(NEXT) | instid1(VALU_DEP_2)
	v_fma_f32 v62, v4, v112, -v2
	v_fmac_f32_e32 v63, v5, v112
	ds_load_2addr_b64 v[2:5], v55 offset0:108 offset1:171
	s_wait_dscnt 0x0
	v_mul_f32_e32 v65, v2, v115
	s_wait_loadcnt 0x0
	v_mul_f32_e32 v67, v4, v119
	s_delay_alu instid0(VALU_DEP_2) | instskip(NEXT) | instid1(VALU_DEP_2)
	v_fmac_f32_e32 v65, v3, v114
	v_dual_mul_f32 v6, v3, v115 :: v_dual_fmac_f32 v67, v5, v118
	s_delay_alu instid0(VALU_DEP_1) | instskip(SKIP_1) | instid1(VALU_DEP_1)
	v_fma_f32 v64, v2, v114, -v6
	v_mul_f32_e32 v2, v5, v119
	v_fma_f32 v66, v4, v118, -v2
	v_mul_u32_u24_e32 v2, 0xe38f, v23
	s_delay_alu instid0(VALU_DEP_1) | instskip(SKIP_1) | instid1(VALU_DEP_1)
	v_lshrrev_b32_e32 v68, 19, v2
	v_mul_u32_u24_e32 v2, 0xe38f, v22
	v_lshrrev_b32_e32 v69, 19, v2
	s_delay_alu instid0(VALU_DEP_3) | instskip(NEXT) | instid1(VALU_DEP_1)
	v_mul_lo_u16 v2, v68, 9
	v_sub_nc_u16 v70, v21, v2
	s_delay_alu instid0(VALU_DEP_3) | instskip(NEXT) | instid1(VALU_DEP_1)
	v_mul_lo_u16 v2, v69, 9
	v_sub_nc_u16 v71, v20, v2
	s_delay_alu instid0(VALU_DEP_3) | instskip(NEXT) | instid1(VALU_DEP_2)
	v_lshlrev_b16 v2, 4, v70
	v_lshlrev_b16 v3, 4, v71
	s_delay_alu instid0(VALU_DEP_2) | instskip(NEXT) | instid1(VALU_DEP_2)
	v_and_b32_e32 v2, 0xffff, v2
	v_and_b32_e32 v3, 0xffff, v3
	s_delay_alu instid0(VALU_DEP_2) | instskip(SKIP_2) | instid1(VALU_DEP_3)
	v_add_co_u32 v6, s2, s10, v2
	s_wait_alu 0xf1ff
	v_add_co_ci_u32_e64 v7, null, s11, 0, s2
	v_add_co_u32 v10, s2, s10, v3
	s_wait_alu 0xf1ff
	v_add_co_ci_u32_e64 v11, null, s11, 0, s2
	ds_load_2addr_b64 v[2:5], v57 offset0:116 offset1:179
	s_clause 0x1
	global_load_b128 v[120:123], v[6:7], off offset:48
	global_load_b128 v[124:127], v[10:11], off offset:48
	s_wait_dscnt 0x0
	v_mul_f32_e32 v16, v3, v117
	v_mul_f32_e32 v73, v2, v117
	s_delay_alu instid0(VALU_DEP_2) | instskip(SKIP_1) | instid1(VALU_DEP_2)
	v_fma_f32 v72, v2, v116, -v16
	s_wait_loadcnt 0x1
	v_dual_fmac_f32 v73, v3, v116 :: v_dual_mul_f32 v2, v5, v121
	v_mul_f32_e32 v75, v4, v121
	s_delay_alu instid0(VALU_DEP_2) | instskip(NEXT) | instid1(VALU_DEP_2)
	v_fma_f32 v74, v4, v120, -v2
	v_fmac_f32_e32 v75, v5, v120
	ds_load_2addr_b64 v[2:5], v51 offset0:106 offset1:169
	s_wait_dscnt 0x0
	v_mul_f32_e32 v6, v3, v123
	v_mul_f32_e32 v77, v2, v123
	s_wait_loadcnt 0x0
	v_mul_f32_e32 v79, v4, v127
	s_delay_alu instid0(VALU_DEP_3) | instskip(NEXT) | instid1(VALU_DEP_3)
	v_fma_f32 v76, v2, v122, -v6
	v_dual_mul_f32 v2, v5, v127 :: v_dual_fmac_f32 v77, v3, v122
	s_delay_alu instid0(VALU_DEP_3) | instskip(NEXT) | instid1(VALU_DEP_2)
	v_fmac_f32_e32 v79, v5, v126
	v_fma_f32 v78, v4, v126, -v2
	v_mul_u32_u24_e32 v2, 0xe38f, v26
	s_delay_alu instid0(VALU_DEP_1) | instskip(SKIP_1) | instid1(VALU_DEP_1)
	v_lshrrev_b32_e32 v80, 19, v2
	v_mul_u32_u24_e32 v2, 0xe38f, v25
	v_lshrrev_b32_e32 v81, 19, v2
	s_delay_alu instid0(VALU_DEP_3) | instskip(NEXT) | instid1(VALU_DEP_1)
	v_mul_lo_u16 v2, v80, 9
	v_sub_nc_u16 v82, v18, v2
	s_delay_alu instid0(VALU_DEP_3) | instskip(NEXT) | instid1(VALU_DEP_1)
	v_mul_lo_u16 v2, v81, 9
	v_sub_nc_u16 v83, v19, v2
	s_delay_alu instid0(VALU_DEP_3) | instskip(NEXT) | instid1(VALU_DEP_2)
	v_lshlrev_b16 v2, 4, v82
	v_lshlrev_b16 v3, 4, v83
	s_delay_alu instid0(VALU_DEP_2) | instskip(NEXT) | instid1(VALU_DEP_2)
	v_and_b32_e32 v2, 0xffff, v2
	v_and_b32_e32 v3, 0xffff, v3
	s_delay_alu instid0(VALU_DEP_2) | instskip(SKIP_2) | instid1(VALU_DEP_3)
	v_add_co_u32 v6, s2, s10, v2
	s_wait_alu 0xf1ff
	v_add_co_ci_u32_e64 v7, null, s11, 0, s2
	v_add_co_u32 v10, s2, s10, v3
	s_wait_alu 0xf1ff
	v_add_co_ci_u32_e64 v11, null, s11, 0, s2
	ds_load_2addr_b64 v[2:5], v52 offset0:114 offset1:177
	s_clause 0x1
	global_load_b128 v[128:131], v[6:7], off offset:48
	global_load_b128 v[132:135], v[10:11], off offset:48
	s_wait_dscnt 0x0
	v_mul_f32_e32 v16, v3, v125
	v_mul_f32_e32 v85, v2, v125
	s_delay_alu instid0(VALU_DEP_2) | instskip(SKIP_1) | instid1(VALU_DEP_2)
	v_fma_f32 v84, v2, v124, -v16
	s_wait_loadcnt 0x1
	v_dual_fmac_f32 v85, v3, v124 :: v_dual_mul_f32 v2, v5, v129
	v_mul_f32_e32 v87, v4, v129
	s_delay_alu instid0(VALU_DEP_2) | instskip(NEXT) | instid1(VALU_DEP_2)
	v_fma_f32 v86, v4, v128, -v2
	v_fmac_f32_e32 v87, v5, v128
	ds_load_2addr_b64 v[2:5], v58 offset0:104 offset1:167
	s_wait_dscnt 0x0
	v_mul_f32_e32 v6, v3, v131
	v_mul_f32_e32 v89, v2, v131
	s_wait_loadcnt 0x0
	v_mul_f32_e32 v91, v4, v135
	s_delay_alu instid0(VALU_DEP_3) | instskip(NEXT) | instid1(VALU_DEP_3)
	v_fma_f32 v88, v2, v130, -v6
	v_dual_mul_f32 v2, v5, v135 :: v_dual_fmac_f32 v89, v3, v130
	s_delay_alu instid0(VALU_DEP_3) | instskip(NEXT) | instid1(VALU_DEP_2)
	v_fmac_f32_e32 v91, v5, v134
	v_fma_f32 v90, v4, v134, -v2
	v_mul_u32_u24_e32 v2, 0xe38f, v27
	s_delay_alu instid0(VALU_DEP_1) | instskip(NEXT) | instid1(VALU_DEP_1)
	v_lshrrev_b32_e32 v92, 19, v2
	v_mul_lo_u16 v2, v92, 9
	s_delay_alu instid0(VALU_DEP_1) | instskip(NEXT) | instid1(VALU_DEP_1)
	v_sub_nc_u16 v93, v24, v2
	v_lshlrev_b16 v2, 4, v93
	s_delay_alu instid0(VALU_DEP_1) | instskip(NEXT) | instid1(VALU_DEP_1)
	v_and_b32_e32 v2, 0xffff, v2
	v_add_co_u32 v6, s2, s10, v2
	s_wait_alu 0xf1ff
	v_add_co_ci_u32_e64 v7, null, s11, 0, s2
	ds_load_2addr_b64 v[2:5], v53 offset0:112 offset1:175
	global_load_b128 v[136:139], v[6:7], off offset:48
	s_wait_dscnt 0x0
	v_mul_f32_e32 v10, v3, v133
	v_mul_f32_e32 v95, v2, v133
	s_delay_alu instid0(VALU_DEP_2) | instskip(SKIP_1) | instid1(VALU_DEP_2)
	v_fma_f32 v94, v2, v132, -v10
	s_wait_loadcnt 0x0
	v_dual_fmac_f32 v95, v3, v132 :: v_dual_mul_f32 v2, v5, v137
	v_mul_f32_e32 v97, v4, v137
	s_delay_alu instid0(VALU_DEP_2) | instskip(NEXT) | instid1(VALU_DEP_2)
	v_fma_f32 v96, v4, v136, -v2
	v_fmac_f32_e32 v97, v5, v136
	ds_load_2addr_b64 v[2:5], v54 offset0:120 offset1:183
	s_wait_dscnt 0x0
	v_mul_f32_e32 v6, v5, v105
	v_mul_f32_e32 v11, v4, v105
	s_delay_alu instid0(VALU_DEP_2) | instskip(NEXT) | instid1(VALU_DEP_2)
	v_fma_f32 v10, v4, v104, -v6
	v_fmac_f32_e32 v11, v5, v104
	ds_load_2addr_b64 v[4:7], v255 offset1:63
	v_sub_f32_e32 v99, v10, v14
	v_add_f32_e32 v17, v11, v15
	v_sub_f32_e32 v98, v11, v15
	s_wait_dscnt 0x0
	v_dual_add_f32 v16, v5, v11 :: v_dual_add_f32 v11, v4, v10
	s_delay_alu instid0(VALU_DEP_3) | instskip(NEXT) | instid1(VALU_DEP_2)
	v_fma_f32 v5, -0.5, v17, v5
	v_dual_add_f32 v33, v16, v15 :: v_dual_add_f32 v32, v11, v14
	v_add_f32_e32 v11, v10, v14
	v_mul_lo_u16 v10, v12, 27
	s_delay_alu instid0(VALU_DEP_4) | instskip(SKIP_1) | instid1(VALU_DEP_4)
	v_fmamk_f32 v35, v99, 0xbf5db3d7, v5
	v_fmac_f32_e32 v5, 0x3f5db3d7, v99
	v_fma_f32 v4, -0.5, v11, v4
	s_delay_alu instid0(VALU_DEP_4) | instskip(NEXT) | instid1(VALU_DEP_2)
	v_and_b32_e32 v10, 0xff, v10
	v_fmamk_f32 v34, v98, 0x3f5db3d7, v4
	s_delay_alu instid0(VALU_DEP_2)
	v_add_lshl_u32 v100, v10, v13, 3
	ds_load_b64 v[37:38], v255 offset:13104
	ds_load_2addr_b64 v[10:13], v255 offset0:126 offset1:189
	ds_load_2addr_b64 v[14:17], v56 offset0:124 offset1:187
	;; [unrolled: 1-line block ×3, first 2 shown]
	global_wb scope:SCOPE_SE
	s_wait_dscnt 0x0
	s_barrier_signal -1
	s_barrier_wait -1
	global_inv scope:SCOPE_SE
	ds_store_2addr_b64 v100, v[32:33], v[34:35] offset1:9
	v_fmac_f32_e32 v4, 0xbf5db3d7, v98
	v_dual_add_f32 v32, v61, v42 :: v_dual_add_f32 v33, v47, v41
	v_dual_sub_f32 v34, v61, v42 :: v_dual_sub_f32 v35, v47, v41
	ds_store_b64 v100, v[4:5] offset:144
	v_dual_add_f32 v4, v7, v61 :: v_dual_fmac_f32 v7, -0.5, v32
	s_delay_alu instid0(VALU_DEP_1) | instskip(SKIP_2) | instid1(VALU_DEP_3)
	v_dual_add_f32 v5, v4, v42 :: v_dual_and_b32 v32, 0xffff, v39
	v_add_f32_e32 v4, v6, v47
	v_fma_f32 v6, -0.5, v33, v6
	v_mul_u32_u24_e32 v32, 27, v32
	v_fmamk_f32 v33, v35, 0xbf5db3d7, v7
	s_delay_alu instid0(VALU_DEP_4) | instskip(SKIP_1) | instid1(VALU_DEP_4)
	v_dual_fmac_f32 v7, 0x3f5db3d7, v35 :: v_dual_add_f32 v4, v4, v41
	v_lshrrev_b16 v41, 9, v1
	v_add_lshl_u32 v39, v32, v40, 3
	v_fmamk_f32 v32, v34, 0x3f5db3d7, v6
	v_fmac_f32_e32 v6, 0xbf5db3d7, v34
	s_delay_alu instid0(VALU_DEP_4)
	v_mul_lo_u16 v1, v41, 27
	ds_store_2addr_b64 v39, v[4:5], v[32:33] offset1:9
	ds_store_b64 v39, v[6:7] offset:144
	v_add_f32_e32 v4, v11, v63
	v_dual_add_f32 v6, v62, v64 :: v_dual_add_f32 v7, v63, v65
	v_dual_sub_f32 v32, v63, v65 :: v_dual_sub_f32 v33, v62, v64
	s_delay_alu instid0(VALU_DEP_3) | instskip(NEXT) | instid1(VALU_DEP_3)
	v_dual_add_f32 v5, v4, v65 :: v_dual_add_f32 v4, v10, v62
	v_fma_f32 v6, -0.5, v6, v10
	v_and_b32_e32 v10, 0xffff, v43
	v_fma_f32 v7, -0.5, v7, v11
	v_sub_nc_u16 v1, v59, v1
	v_add_f32_e32 v4, v4, v64
	s_delay_alu instid0(VALU_DEP_4) | instskip(NEXT) | instid1(VALU_DEP_4)
	v_mul_u32_u24_e32 v10, 27, v10
	v_fmamk_f32 v11, v33, 0xbf5db3d7, v7
	v_fmac_f32_e32 v7, 0x3f5db3d7, v33
	v_and_b32_e32 v42, 0xff, v1
	s_delay_alu instid0(VALU_DEP_4) | instskip(SKIP_1) | instid1(VALU_DEP_3)
	v_add_lshl_u32 v34, v10, v45, 3
	v_fmamk_f32 v10, v32, 0x3f5db3d7, v6
	v_dual_fmac_f32 v6, 0xbf5db3d7, v32 :: v_dual_lshlrev_b32 v1, 4, v42
	ds_store_2addr_b64 v34, v[4:5], v[10:11] offset1:9
	ds_store_b64 v34, v[6:7] offset:144
	v_add_f32_e32 v6, v73, v67
	v_dual_add_f32 v4, v13, v73 :: v_dual_add_f32 v7, v72, v66
	v_dual_sub_f32 v10, v73, v67 :: v_dual_sub_f32 v11, v72, v66
	s_delay_alu instid0(VALU_DEP_3) | instskip(NEXT) | instid1(VALU_DEP_3)
	v_dual_fmac_f32 v13, -0.5, v6 :: v_dual_and_b32 v6, 0xffff, v44
	v_add_f32_e32 v5, v4, v67
	v_add_f32_e32 v4, v12, v72
	v_fma_f32 v12, -0.5, v7, v12
	s_delay_alu instid0(VALU_DEP_4) | instskip(SKIP_1) | instid1(VALU_DEP_4)
	v_fmamk_f32 v7, v11, 0xbf5db3d7, v13
	v_mul_u32_u24_e32 v6, 27, v6
	v_dual_fmac_f32 v13, 0x3f5db3d7, v11 :: v_dual_add_f32 v4, v4, v66
	s_delay_alu instid0(VALU_DEP_2)
	v_add_lshl_u32 v32, v6, v46, 3
	v_fmamk_f32 v6, v10, 0x3f5db3d7, v12
	v_fmac_f32_e32 v12, 0xbf5db3d7, v10
	v_mad_u16 v10, v68, 27, v70
	ds_store_2addr_b64 v32, v[4:5], v[6:7] offset1:9
	v_add_f32_e32 v4, v15, v75
	v_dual_add_f32 v7, v75, v77 :: v_dual_add_f32 v6, v74, v76
	ds_store_b64 v32, v[12:13] offset:144
	v_sub_f32_e32 v12, v75, v77
	v_dual_add_f32 v5, v4, v77 :: v_dual_add_f32 v4, v14, v74
	v_sub_f32_e32 v13, v74, v76
	v_fma_f32 v6, -0.5, v6, v14
	v_fma_f32 v7, -0.5, v7, v15
	v_and_b32_e32 v10, 0xffff, v10
	s_delay_alu instid0(VALU_DEP_2) | instskip(NEXT) | instid1(VALU_DEP_2)
	v_dual_add_f32 v4, v4, v76 :: v_dual_fmamk_f32 v11, v13, 0xbf5db3d7, v7
	v_lshlrev_b32_e32 v14, 3, v10
	v_fmamk_f32 v10, v12, 0x3f5db3d7, v6
	v_fmac_f32_e32 v6, 0xbf5db3d7, v12
	v_dual_fmac_f32 v7, 0x3f5db3d7, v13 :: v_dual_sub_f32 v12, v84, v78
	v_sub_f32_e32 v13, v86, v88
	ds_store_2addr_b64 v14, v[4:5], v[10:11] offset1:9
	v_add_f32_e32 v4, v17, v85
	ds_store_b64 v14, v[6:7] offset:144
	v_mad_u16 v6, v69, 27, v71
	v_add_f32_e32 v7, v85, v79
	v_dual_add_f32 v11, v84, v78 :: v_dual_sub_f32 v10, v85, v79
	v_add_f32_e32 v5, v4, v79
	s_delay_alu instid0(VALU_DEP_3) | instskip(NEXT) | instid1(VALU_DEP_3)
	v_dual_add_f32 v4, v16, v84 :: v_dual_fmac_f32 v17, -0.5, v7
	v_fma_f32 v16, -0.5, v11, v16
	v_and_b32_e32 v6, 0xffff, v6
	s_delay_alu instid0(VALU_DEP_3) | instskip(NEXT) | instid1(VALU_DEP_4)
	v_add_f32_e32 v4, v4, v78
	v_fmamk_f32 v7, v12, 0xbf5db3d7, v17
	v_fmac_f32_e32 v17, 0x3f5db3d7, v12
	s_delay_alu instid0(VALU_DEP_4)
	v_dual_fmamk_f32 v6, v10, 0x3f5db3d7, v16 :: v_dual_lshlrev_b32 v11, 3, v6
	v_fmac_f32_e32 v16, 0xbf5db3d7, v10
	v_mad_u16 v10, v80, 27, v82
	v_sub_f32_e32 v12, v87, v89
	s_clause 0x2
	scratch_store_b32 off, v34, off offset:384
	scratch_store_b32 off, v14, off offset:372
	;; [unrolled: 1-line block ×3, first 2 shown]
	ds_store_2addr_b64 v11, v[4:5], v[6:7] offset1:9
	v_dual_add_f32 v4, v29, v87 :: v_dual_add_f32 v7, v87, v89
	v_add_f32_e32 v6, v86, v88
	v_and_b32_e32 v10, 0xffff, v10
	ds_store_b64 v11, v[16:17] offset:144
	v_add_f32_e32 v5, v4, v89
	v_add_f32_e32 v4, v28, v86
	v_fma_f32 v6, -0.5, v6, v28
	v_fma_f32 v7, -0.5, v7, v29
	v_lshlrev_b32_e32 v14, 3, v10
	s_delay_alu instid0(VALU_DEP_4) | instskip(NEXT) | instid1(VALU_DEP_4)
	v_add_f32_e32 v4, v4, v88
	v_fmamk_f32 v10, v12, 0x3f5db3d7, v6
	s_delay_alu instid0(VALU_DEP_4)
	v_dual_fmamk_f32 v11, v13, 0xbf5db3d7, v7 :: v_dual_fmac_f32 v6, 0xbf5db3d7, v12
	v_dual_fmac_f32 v7, 0x3f5db3d7, v13 :: v_dual_sub_f32 v12, v94, v90
	ds_store_2addr_b64 v14, v[4:5], v[10:11] offset1:9
	v_add_f32_e32 v4, v31, v95
	ds_store_b64 v14, v[6:7] offset:144
	v_mad_u16 v6, v81, 27, v83
	v_add_f32_e32 v7, v95, v91
	v_dual_add_f32 v11, v94, v90 :: v_dual_sub_f32 v10, v95, v91
	v_dual_add_f32 v5, v4, v91 :: v_dual_add_f32 v4, v30, v94
	s_delay_alu instid0(VALU_DEP_3) | instskip(NEXT) | instid1(VALU_DEP_3)
	v_fmac_f32_e32 v31, -0.5, v7
	v_fma_f32 v30, -0.5, v11, v30
	v_and_b32_e32 v6, 0xffff, v6
	s_delay_alu instid0(VALU_DEP_4) | instskip(NEXT) | instid1(VALU_DEP_4)
	v_add_f32_e32 v4, v4, v90
	v_fmamk_f32 v7, v12, 0xbf5db3d7, v31
	v_fmac_f32_e32 v31, 0x3f5db3d7, v12
	s_delay_alu instid0(VALU_DEP_4)
	v_dual_fmamk_f32 v6, v10, 0x3f5db3d7, v30 :: v_dual_lshlrev_b32 v11, 3, v6
	v_fmac_f32_e32 v30, 0xbf5db3d7, v10
	s_clause 0x2
	scratch_store_b32 off, v100, off offset:380
	scratch_store_b32 off, v14, off offset:364
	;; [unrolled: 1-line block ×3, first 2 shown]
	ds_store_2addr_b64 v11, v[4:5], v[6:7] offset1:9
	v_dual_mul_f32 v4, v38, v139 :: v_dual_add_f32 v5, v3, v97
	ds_store_b64 v11, v[30:31] offset:144
	v_mad_u16 v7, v92, 27, v93
	v_fma_f32 v6, v37, v138, -v4
	v_mul_f32_e32 v4, v37, v139
	s_delay_alu instid0(VALU_DEP_2) | instskip(NEXT) | instid1(VALU_DEP_2)
	v_add_f32_e32 v12, v96, v6
	v_fmac_f32_e32 v4, v38, v138
	s_delay_alu instid0(VALU_DEP_1) | instskip(SKIP_4) | instid1(VALU_DEP_2)
	v_dual_sub_f32 v13, v96, v6 :: v_dual_sub_f32 v10, v97, v4
	v_add_f32_e32 v11, v97, v4
	v_add_f32_e32 v5, v5, v4
	;; [unrolled: 1-line block ×3, first 2 shown]
	v_fma_f32 v2, -0.5, v12, v2
	v_dual_fmac_f32 v3, -0.5, v11 :: v_dual_add_f32 v4, v4, v6
	v_and_b32_e32 v6, 0xffff, v7
	s_delay_alu instid0(VALU_DEP_2) | instskip(SKIP_1) | instid1(VALU_DEP_3)
	v_fmamk_f32 v7, v13, 0xbf5db3d7, v3
	v_fmac_f32_e32 v3, 0x3f5db3d7, v13
	v_dual_fmamk_f32 v6, v10, 0x3f5db3d7, v2 :: v_dual_lshlrev_b32 v11, 3, v6
	v_fmac_f32_e32 v2, 0xbf5db3d7, v10
	v_lshrrev_b16 v10, 9, v0
	s_clause 0x2
	scratch_store_b32 off, v39, off offset:388
	scratch_store_b32 off, v32, off offset:376
	;; [unrolled: 1-line block ×3, first 2 shown]
	ds_store_2addr_b64 v11, v[4:5], v[6:7] offset1:9
	v_mul_lo_u16 v0, v10, 27
	ds_store_b64 v11, v[2:3] offset:144
	global_wb scope:SCOPE_SE
	s_wait_storecnt_dscnt 0x0
	s_barrier_signal -1
	s_barrier_wait -1
	v_sub_nc_u16 v0, v48, v0
	global_inv scope:SCOPE_SE
	v_mul_lo_u16 v10, 0x51, v10
	v_and_b32_e32 v11, 0xff, v0
	s_delay_alu instid0(VALU_DEP_1)
	v_lshlrev_b32_e32 v0, 4, v11
	s_clause 0x1
	global_load_b128 v[32:35], v0, s[10:11] offset:192
	global_load_b128 v[44:47], v1, s[10:11] offset:192
	ds_load_2addr_b64 v[0:3], v50 offset0:110 offset1:173
	s_wait_loadcnt_dscnt 0x100
	v_mul_f32_e32 v13, v0, v35
	s_wait_loadcnt 0x0
	v_mul_f32_e32 v61, v2, v47
	s_delay_alu instid0(VALU_DEP_2) | instskip(NEXT) | instid1(VALU_DEP_2)
	v_fmac_f32_e32 v13, v1, v34
	v_dual_fmac_f32 v61, v3, v46 :: v_dual_mul_f32 v4, v1, v35
	s_delay_alu instid0(VALU_DEP_1) | instskip(SKIP_1) | instid1(VALU_DEP_1)
	v_fma_f32 v12, v0, v34, -v4
	v_mul_f32_e32 v0, v3, v47
	v_fma_f32 v43, v2, v46, -v0
	v_mul_lo_u16 v0, v9, 19
	v_mul_lo_u16 v9, 0xcb, v9
	s_delay_alu instid0(VALU_DEP_2) | instskip(SKIP_2) | instid1(VALU_DEP_2)
	v_lshrrev_b16 v62, 9, v0
	v_mul_lo_u16 v0, v8, 19
	v_mul_lo_u16 v8, 0xcb, v8
	v_lshrrev_b16 v63, 9, v0
	s_delay_alu instid0(VALU_DEP_4) | instskip(NEXT) | instid1(VALU_DEP_2)
	v_mul_lo_u16 v0, v62, 27
	v_mul_lo_u16 v1, v63, 27
	s_delay_alu instid0(VALU_DEP_2) | instskip(NEXT) | instid1(VALU_DEP_2)
	v_sub_nc_u16 v0, v36, v0
	v_sub_nc_u16 v1, v248, v1
	s_delay_alu instid0(VALU_DEP_2) | instskip(NEXT) | instid1(VALU_DEP_2)
	v_and_b32_e32 v72, 0xff, v0
	v_and_b32_e32 v73, 0xff, v1
	ds_load_2addr_b64 v[0:3], v49 offset0:118 offset1:181
	s_wait_dscnt 0x0
	v_mul_f32_e32 v4, v1, v45
	v_mul_f32_e32 v75, v0, v45
	s_delay_alu instid0(VALU_DEP_2) | instskip(SKIP_1) | instid1(VALU_DEP_3)
	v_fma_f32 v74, v0, v44, -v4
	v_lshlrev_b32_e32 v0, 4, v72
	v_fmac_f32_e32 v75, v1, v44
	v_lshlrev_b32_e32 v1, 4, v73
	s_clause 0x1
	global_load_b128 v[64:67], v0, s[10:11] offset:192
	global_load_b128 v[68:71], v1, s[10:11] offset:192
	s_wait_loadcnt 0x1
	v_mul_f32_e32 v77, v2, v65
	s_delay_alu instid0(VALU_DEP_1) | instskip(SKIP_1) | instid1(VALU_DEP_1)
	v_fmac_f32_e32 v77, v3, v64
	v_mul_f32_e32 v0, v3, v65
	v_fma_f32 v76, v2, v64, -v0
	ds_load_2addr_b64 v[0:3], v55 offset0:108 offset1:171
	s_wait_dscnt 0x0
	v_mul_f32_e32 v4, v1, v67
	v_mul_f32_e32 v79, v0, v67
	s_wait_loadcnt 0x0
	v_mul_f32_e32 v81, v2, v71
	s_delay_alu instid0(VALU_DEP_3) | instskip(NEXT) | instid1(VALU_DEP_3)
	v_fma_f32 v78, v0, v66, -v4
	v_dual_mul_f32 v0, v3, v71 :: v_dual_fmac_f32 v79, v1, v66
	s_delay_alu instid0(VALU_DEP_3) | instskip(NEXT) | instid1(VALU_DEP_2)
	v_fmac_f32_e32 v81, v3, v70
	v_fma_f32 v80, v2, v70, -v0
	v_mul_u32_u24_e32 v0, 0x2f69, v23
	v_mul_u32_u24_e32 v23, 0x6523, v23
	s_delay_alu instid0(VALU_DEP_2) | instskip(NEXT) | instid1(VALU_DEP_2)
	v_lshrrev_b32_e32 v0, 16, v0
	v_lshrrev_b32_e32 v23, 21, v23
	s_delay_alu instid0(VALU_DEP_2) | instskip(NEXT) | instid1(VALU_DEP_2)
	v_sub_nc_u16 v1, v21, v0
	v_mul_lo_u16 v23, 0x51, v23
	s_delay_alu instid0(VALU_DEP_2) | instskip(NEXT) | instid1(VALU_DEP_2)
	v_lshrrev_b16 v1, 1, v1
	v_sub_nc_u16 v210, v21, v23
	s_delay_alu instid0(VALU_DEP_2) | instskip(SKIP_1) | instid1(VALU_DEP_2)
	v_add_nc_u16 v0, v1, v0
	v_mul_u32_u24_e32 v1, 0x2f69, v22
	v_lshrrev_b16 v82, 4, v0
	s_delay_alu instid0(VALU_DEP_2) | instskip(NEXT) | instid1(VALU_DEP_2)
	v_lshrrev_b32_e32 v1, 16, v1
	v_mul_lo_u16 v0, v82, 27
	s_delay_alu instid0(VALU_DEP_2) | instskip(NEXT) | instid1(VALU_DEP_2)
	v_sub_nc_u16 v2, v20, v1
	v_sub_nc_u16 v156, v21, v0
	s_delay_alu instid0(VALU_DEP_2) | instskip(SKIP_1) | instid1(VALU_DEP_2)
	v_lshrrev_b16 v2, 1, v2
	v_mul_u32_u24_e32 v21, 0x6523, v22
	v_add_nc_u16 v1, v2, v1
	s_delay_alu instid0(VALU_DEP_2) | instskip(NEXT) | instid1(VALU_DEP_2)
	v_lshrrev_b32_e32 v211, 21, v21
	v_lshrrev_b16 v83, 4, v1
	s_delay_alu instid0(VALU_DEP_2) | instskip(NEXT) | instid1(VALU_DEP_2)
	v_mul_lo_u16 v21, 0x51, v211
	v_mul_lo_u16 v0, v83, 27
	s_delay_alu instid0(VALU_DEP_2) | instskip(NEXT) | instid1(VALU_DEP_2)
	v_sub_nc_u16 v212, v20, v21
	v_sub_nc_u16 v157, v20, v0
	v_lshlrev_b16 v0, 4, v156
	v_lshlrev_b16 v20, 4, v210
	s_delay_alu instid0(VALU_DEP_4) | instskip(NEXT) | instid1(VALU_DEP_4)
	v_lshlrev_b16 v21, 4, v212
	v_lshlrev_b16 v1, 4, v157
	s_delay_alu instid0(VALU_DEP_4) | instskip(NEXT) | instid1(VALU_DEP_4)
	v_and_b32_e32 v0, 0xffff, v0
	v_and_b32_e32 v20, 0xffff, v20
	s_delay_alu instid0(VALU_DEP_4) | instskip(NEXT) | instid1(VALU_DEP_4)
	v_and_b32_e32 v22, 0xffff, v21
	v_and_b32_e32 v1, 0xffff, v1
	s_delay_alu instid0(VALU_DEP_4) | instskip(SKIP_2) | instid1(VALU_DEP_3)
	v_add_co_u32 v4, s2, s10, v0
	s_wait_alu 0xf1ff
	v_add_co_ci_u32_e64 v5, null, s11, 0, s2
	v_add_co_u32 v6, s2, s10, v1
	s_wait_alu 0xf1ff
	v_add_co_ci_u32_e64 v7, null, s11, 0, s2
	ds_load_2addr_b64 v[0:3], v57 offset0:116 offset1:179
	s_clause 0x1
	global_load_b128 v[84:87], v[4:5], off offset:192
	global_load_b128 v[88:91], v[6:7], off offset:192
	s_wait_dscnt 0x0
	v_mul_f32_e32 v14, v1, v69
	v_mul_f32_e32 v159, v0, v69
	s_delay_alu instid0(VALU_DEP_2) | instskip(SKIP_1) | instid1(VALU_DEP_2)
	v_fma_f32 v158, v0, v68, -v14
	s_wait_loadcnt 0x1
	v_dual_fmac_f32 v159, v1, v68 :: v_dual_mul_f32 v0, v3, v85
	v_mul_f32_e32 v181, v2, v85
	s_delay_alu instid0(VALU_DEP_2) | instskip(NEXT) | instid1(VALU_DEP_2)
	v_fma_f32 v180, v2, v84, -v0
	v_fmac_f32_e32 v181, v3, v84
	ds_load_2addr_b64 v[0:3], v51 offset0:106 offset1:169
	s_wait_dscnt 0x0
	v_mul_f32_e32 v4, v1, v87
	v_mul_f32_e32 v183, v0, v87
	s_wait_loadcnt 0x0
	v_mul_f32_e32 v185, v2, v91
	s_delay_alu instid0(VALU_DEP_3) | instskip(NEXT) | instid1(VALU_DEP_3)
	v_fma_f32 v182, v0, v86, -v4
	v_dual_mul_f32 v0, v3, v91 :: v_dual_fmac_f32 v183, v1, v86
	s_delay_alu instid0(VALU_DEP_3) | instskip(NEXT) | instid1(VALU_DEP_2)
	v_fmac_f32_e32 v185, v3, v90
	v_fma_f32 v184, v2, v90, -v0
	v_mul_u32_u24_e32 v0, 0x2f69, v26
	v_mul_u32_u24_e32 v26, 0x6523, v26
	s_delay_alu instid0(VALU_DEP_2) | instskip(NEXT) | instid1(VALU_DEP_2)
	v_lshrrev_b32_e32 v0, 16, v0
	v_lshrrev_b32_e32 v217, 21, v26
	s_delay_alu instid0(VALU_DEP_2) | instskip(NEXT) | instid1(VALU_DEP_2)
	v_sub_nc_u16 v1, v18, v0
	v_mul_lo_u16 v26, 0x51, v217
	s_delay_alu instid0(VALU_DEP_2) | instskip(NEXT) | instid1(VALU_DEP_2)
	v_lshrrev_b16 v1, 1, v1
	v_sub_nc_u16 v218, v18, v26
	s_delay_alu instid0(VALU_DEP_2) | instskip(SKIP_1) | instid1(VALU_DEP_2)
	v_add_nc_u16 v0, v1, v0
	v_mul_u32_u24_e32 v1, 0x2f69, v25
	v_lshrrev_b16 v186, 4, v0
	s_delay_alu instid0(VALU_DEP_2) | instskip(NEXT) | instid1(VALU_DEP_2)
	v_lshrrev_b32_e32 v1, 16, v1
	v_mul_lo_u16 v0, v186, 27
	s_delay_alu instid0(VALU_DEP_2) | instskip(NEXT) | instid1(VALU_DEP_2)
	v_sub_nc_u16 v2, v19, v1
	v_sub_nc_u16 v188, v18, v0
	s_delay_alu instid0(VALU_DEP_2) | instskip(SKIP_1) | instid1(VALU_DEP_2)
	v_lshrrev_b16 v2, 1, v2
	v_mul_u32_u24_e32 v18, 0x6523, v25
	v_add_nc_u16 v1, v2, v1
	s_delay_alu instid0(VALU_DEP_2) | instskip(NEXT) | instid1(VALU_DEP_2)
	v_lshrrev_b32_e32 v219, 21, v18
	v_lshrrev_b16 v187, 4, v1
	s_delay_alu instid0(VALU_DEP_2) | instskip(NEXT) | instid1(VALU_DEP_2)
	v_mul_lo_u16 v18, 0x51, v219
	v_mul_lo_u16 v0, v187, 27
	s_delay_alu instid0(VALU_DEP_2) | instskip(SKIP_1) | instid1(VALU_DEP_3)
	v_sub_nc_u16 v220, v19, v18
	v_mul_u32_u24_e32 v18, 0x6523, v27
	v_sub_nc_u16 v189, v19, v0
	v_lshlrev_b16 v0, 4, v188
	s_delay_alu instid0(VALU_DEP_3) | instskip(NEXT) | instid1(VALU_DEP_3)
	v_lshrrev_b32_e32 v18, 21, v18
	v_lshlrev_b16 v1, 4, v189
	s_delay_alu instid0(VALU_DEP_3) | instskip(NEXT) | instid1(VALU_DEP_3)
	v_and_b32_e32 v0, 0xffff, v0
	v_mul_lo_u16 v18, 0x51, v18
	s_delay_alu instid0(VALU_DEP_3) | instskip(NEXT) | instid1(VALU_DEP_3)
	v_and_b32_e32 v1, 0xffff, v1
	v_add_co_u32 v4, s2, s10, v0
	s_wait_alu 0xf1ff
	v_add_co_ci_u32_e64 v5, null, s11, 0, s2
	s_delay_alu instid0(VALU_DEP_3)
	v_add_co_u32 v6, s2, s10, v1
	s_wait_alu 0xf1ff
	v_add_co_ci_u32_e64 v7, null, s11, 0, s2
	ds_load_2addr_b64 v[0:3], v52 offset0:114 offset1:177
	s_clause 0x1
	global_load_b128 v[92:95], v[4:5], off offset:192
	global_load_b128 v[96:99], v[6:7], off offset:192
	v_sub_nc_u16 v221, v24, v18
	s_wait_dscnt 0x0
	v_mul_f32_e32 v14, v1, v89
	v_mul_f32_e32 v191, v0, v89
	s_delay_alu instid0(VALU_DEP_2) | instskip(SKIP_1) | instid1(VALU_DEP_2)
	v_fma_f32 v190, v0, v88, -v14
	s_wait_loadcnt 0x1
	v_dual_fmac_f32 v191, v1, v88 :: v_dual_mul_f32 v0, v3, v93
	v_mul_f32_e32 v193, v2, v93
	s_delay_alu instid0(VALU_DEP_2) | instskip(NEXT) | instid1(VALU_DEP_2)
	v_fma_f32 v192, v2, v92, -v0
	v_fmac_f32_e32 v193, v3, v92
	ds_load_2addr_b64 v[0:3], v58 offset0:104 offset1:167
	s_wait_dscnt 0x0
	v_mul_f32_e32 v4, v1, v95
	v_mul_f32_e32 v195, v0, v95
	s_wait_loadcnt 0x0
	v_mul_f32_e32 v197, v2, v99
	s_delay_alu instid0(VALU_DEP_3) | instskip(NEXT) | instid1(VALU_DEP_3)
	v_fma_f32 v194, v0, v94, -v4
	v_dual_mul_f32 v0, v3, v99 :: v_dual_fmac_f32 v195, v1, v94
	s_delay_alu instid0(VALU_DEP_3) | instskip(SKIP_1) | instid1(VALU_DEP_3)
	v_fmac_f32_e32 v197, v3, v98
	v_and_b32_e32 v10, 0xff, v10
	v_fma_f32 v196, v2, v98, -v0
	v_mul_u32_u24_e32 v0, 0x2f69, v27
	s_delay_alu instid0(VALU_DEP_3) | instskip(NEXT) | instid1(VALU_DEP_2)
	v_add_lshl_u32 v207, v10, v11, 3
	v_lshrrev_b32_e32 v0, 16, v0
	s_delay_alu instid0(VALU_DEP_1) | instskip(NEXT) | instid1(VALU_DEP_1)
	v_sub_nc_u16 v1, v24, v0
	v_lshrrev_b16 v1, 1, v1
	s_delay_alu instid0(VALU_DEP_1) | instskip(NEXT) | instid1(VALU_DEP_1)
	v_add_nc_u16 v0, v1, v0
	v_lshrrev_b16 v198, 4, v0
	s_delay_alu instid0(VALU_DEP_1) | instskip(NEXT) | instid1(VALU_DEP_1)
	v_mul_lo_u16 v0, v198, 27
	v_sub_nc_u16 v199, v24, v0
	s_delay_alu instid0(VALU_DEP_1) | instskip(NEXT) | instid1(VALU_DEP_1)
	v_lshlrev_b16 v0, 4, v199
	v_and_b32_e32 v0, 0xffff, v0
	s_delay_alu instid0(VALU_DEP_1)
	v_add_co_u32 v4, s2, s10, v0
	s_wait_alu 0xf1ff
	v_add_co_ci_u32_e64 v5, null, s11, 0, s2
	ds_load_2addr_b64 v[0:3], v53 offset0:112 offset1:175
	global_load_b128 v[100:103], v[4:5], off offset:192
	s_wait_dscnt 0x0
	v_mul_f32_e32 v6, v1, v97
	v_mul_f32_e32 v201, v0, v97
	s_delay_alu instid0(VALU_DEP_2) | instskip(SKIP_1) | instid1(VALU_DEP_2)
	v_fma_f32 v200, v0, v96, -v6
	s_wait_loadcnt 0x0
	v_dual_fmac_f32 v201, v1, v96 :: v_dual_mul_f32 v0, v3, v101
	v_mul_f32_e32 v203, v2, v101
	s_delay_alu instid0(VALU_DEP_2) | instskip(NEXT) | instid1(VALU_DEP_2)
	v_fma_f32 v202, v2, v100, -v0
	v_fmac_f32_e32 v203, v3, v100
	ds_load_2addr_b64 v[0:3], v54 offset0:120 offset1:183
	s_wait_dscnt 0x0
	v_mul_f32_e32 v4, v3, v33
	v_mul_f32_e32 v6, v2, v33
	s_delay_alu instid0(VALU_DEP_2) | instskip(NEXT) | instid1(VALU_DEP_2)
	v_fma_f32 v14, v2, v32, -v4
	v_fmac_f32_e32 v6, v3, v32
	ds_load_2addr_b64 v[2:5], v255 offset1:63
	v_sub_f32_e32 v205, v14, v12
	v_sub_f32_e32 v204, v6, v13
	v_add_f32_e32 v15, v6, v13
	s_wait_dscnt 0x0
	v_add_f32_e32 v7, v3, v6
	v_add_f32_e32 v6, v2, v14
	s_delay_alu instid0(VALU_DEP_3) | instskip(NEXT) | instid1(VALU_DEP_3)
	v_fma_f32 v3, -0.5, v15, v3
	v_add_f32_e32 v7, v7, v13
	v_add_f32_e32 v13, v14, v12
	s_delay_alu instid0(VALU_DEP_4) | instskip(NEXT) | instid1(VALU_DEP_4)
	v_add_f32_e32 v6, v6, v12
	v_fmamk_f32 v38, v205, 0xbf5db3d7, v3
	v_fmac_f32_e32 v3, 0x3f5db3d7, v205
	s_delay_alu instid0(VALU_DEP_4)
	v_fma_f32 v2, -0.5, v13, v2
	ds_load_b64 v[39:40], v255 offset:13104
	ds_load_2addr_b64 v[10:13], v255 offset0:126 offset1:189
	ds_load_2addr_b64 v[14:17], v56 offset0:124 offset1:187
	ds_load_2addr_b64 v[28:31], v222 offset0:122 offset1:185
	global_wb scope:SCOPE_SE
	s_wait_dscnt 0x0
	s_barrier_signal -1
	s_barrier_wait -1
	v_fmamk_f32 v37, v204, 0x3f5db3d7, v2
	global_inv scope:SCOPE_SE
	v_fmac_f32_e32 v2, 0xbf5db3d7, v204
	ds_store_2addr_b64 v207, v[6:7], v[37:38] offset1:27
	v_add_f32_e32 v6, v75, v61
	ds_store_b64 v207, v[2:3] offset:432
	v_add_f32_e32 v2, v5, v75
	v_add_f32_e32 v7, v74, v43
	v_sub_f32_e32 v37, v75, v61
	v_dual_fmac_f32 v5, -0.5, v6 :: v_dual_and_b32 v6, 0xffff, v41
	s_delay_alu instid0(VALU_DEP_4) | instskip(SKIP_2) | instid1(VALU_DEP_4)
	v_dual_add_f32 v3, v2, v61 :: v_dual_add_f32 v2, v4, v74
	v_sub_f32_e32 v38, v74, v43
	v_fma_f32 v4, -0.5, v7, v4
	v_mul_u32_u24_e32 v6, 0x51, v6
	s_delay_alu instid0(VALU_DEP_4) | instskip(NEXT) | instid1(VALU_DEP_4)
	v_add_f32_e32 v2, v2, v43
	v_fmamk_f32 v7, v38, 0xbf5db3d7, v5
	v_fmac_f32_e32 v5, 0x3f5db3d7, v38
	s_delay_alu instid0(VALU_DEP_4)
	v_add_lshl_u32 v41, v6, v42, 3
	v_fmamk_f32 v6, v37, 0x3f5db3d7, v4
	v_dual_fmac_f32 v4, 0xbf5db3d7, v37 :: v_dual_sub_f32 v37, v77, v79
	v_sub_f32_e32 v38, v76, v78
	ds_store_2addr_b64 v41, v[2:3], v[6:7] offset1:27
	ds_store_b64 v41, v[4:5] offset:432
	v_dual_add_f32 v5, v77, v79 :: v_dual_add_f32 v4, v76, v78
	v_and_b32_e32 v6, 0xffff, v62
	v_add_f32_e32 v2, v11, v77
	s_delay_alu instid0(VALU_DEP_3) | instskip(NEXT) | instid1(VALU_DEP_4)
	v_fma_f32 v5, -0.5, v5, v11
	v_fma_f32 v4, -0.5, v4, v10
	s_delay_alu instid0(VALU_DEP_4) | instskip(NEXT) | instid1(VALU_DEP_4)
	v_mul_u32_u24_e32 v6, 0x51, v6
	v_add_f32_e32 v3, v2, v79
	v_add_f32_e32 v2, v10, v76
	v_fmamk_f32 v7, v38, 0xbf5db3d7, v5
	v_fmac_f32_e32 v5, 0x3f5db3d7, v38
	v_add_lshl_u32 v10, v6, v72, 3
	v_fmamk_f32 v6, v37, 0x3f5db3d7, v4
	v_fmac_f32_e32 v4, 0xbf5db3d7, v37
	v_add_f32_e32 v2, v2, v78
	v_sub_f32_e32 v11, v180, v182
	scratch_store_b32 off, v10, off offset:336 ; 4-byte Folded Spill
	ds_store_b64 v10, v[4:5] offset:432
	v_add_f32_e32 v4, v159, v81
	ds_store_2addr_b64 v10, v[2:3], v[6:7] offset1:27
	v_dual_add_f32 v2, v13, v159 :: v_dual_add_f32 v5, v158, v80
	v_dual_sub_f32 v6, v159, v81 :: v_dual_fmac_f32 v13, -0.5, v4
	s_delay_alu instid0(VALU_DEP_2) | instskip(SKIP_1) | instid1(VALU_DEP_4)
	v_dual_add_f32 v3, v2, v81 :: v_dual_and_b32 v4, 0xffff, v63
	v_dual_add_f32 v2, v12, v158 :: v_dual_sub_f32 v7, v158, v80
	v_fma_f32 v12, -0.5, v5, v12
	s_delay_alu instid0(VALU_DEP_3) | instskip(NEXT) | instid1(VALU_DEP_3)
	v_mul_u32_u24_e32 v4, 0x51, v4
	v_dual_add_f32 v2, v2, v80 :: v_dual_fmamk_f32 v5, v7, 0xbf5db3d7, v13
	v_fmac_f32_e32 v13, 0x3f5db3d7, v7
	s_delay_alu instid0(VALU_DEP_3)
	v_add_lshl_u32 v10, v4, v73, 3
	v_fmamk_f32 v4, v6, 0x3f5db3d7, v12
	v_fmac_f32_e32 v12, 0xbf5db3d7, v6
	v_mad_u16 v6, 0x51, v82, v156
	scratch_store_b32 off, v10, off offset:328 ; 4-byte Folded Spill
	ds_store_2addr_b64 v10, v[2:3], v[4:5] offset1:27
	v_dual_add_f32 v2, v15, v181 :: v_dual_add_f32 v5, v181, v183
	v_add_f32_e32 v4, v180, v182
	ds_store_b64 v10, v[12:13] offset:432
	v_sub_f32_e32 v10, v181, v183
	v_add_f32_e32 v3, v2, v183
	v_add_f32_e32 v2, v14, v180
	v_fma_f32 v4, -0.5, v4, v14
	v_fma_f32 v5, -0.5, v5, v15
	v_and_b32_e32 v6, 0xffff, v6
	s_delay_alu instid0(VALU_DEP_2) | instskip(NEXT) | instid1(VALU_DEP_2)
	v_dual_add_f32 v2, v2, v182 :: v_dual_fmamk_f32 v7, v11, 0xbf5db3d7, v5
	v_lshlrev_b32_e32 v12, 3, v6
	v_fmamk_f32 v6, v10, 0x3f5db3d7, v4
	v_fmac_f32_e32 v4, 0xbf5db3d7, v10
	v_dual_fmac_f32 v5, 0x3f5db3d7, v11 :: v_dual_sub_f32 v10, v190, v184
	v_sub_f32_e32 v11, v192, v194
	ds_store_2addr_b64 v12, v[2:3], v[6:7] offset1:27
	v_add_f32_e32 v2, v17, v191
	ds_store_b64 v12, v[4:5] offset:432
	v_mad_u16 v4, 0x51, v83, v157
	v_add_f32_e32 v5, v191, v185
	v_dual_add_f32 v7, v190, v184 :: v_dual_sub_f32 v6, v191, v185
	v_dual_add_f32 v3, v2, v185 :: v_dual_add_f32 v2, v16, v190
	s_delay_alu instid0(VALU_DEP_3) | instskip(NEXT) | instid1(VALU_DEP_3)
	v_fmac_f32_e32 v17, -0.5, v5
	v_fma_f32 v16, -0.5, v7, v16
	v_and_b32_e32 v4, 0xffff, v4
	s_delay_alu instid0(VALU_DEP_4) | instskip(NEXT) | instid1(VALU_DEP_4)
	v_add_f32_e32 v2, v2, v184
	v_fmamk_f32 v5, v10, 0xbf5db3d7, v17
	v_fmac_f32_e32 v17, 0x3f5db3d7, v10
	s_delay_alu instid0(VALU_DEP_4)
	v_dual_fmamk_f32 v4, v6, 0x3f5db3d7, v16 :: v_dual_lshlrev_b32 v7, 3, v4
	v_fmac_f32_e32 v16, 0xbf5db3d7, v6
	v_mad_u16 v6, 0x51, v186, v188
	v_sub_f32_e32 v10, v193, v195
	s_clause 0x1
	scratch_store_b32 off, v12, off offset:324
	scratch_store_b32 off, v7, off offset:316
	ds_store_2addr_b64 v7, v[2:3], v[4:5] offset1:27
	v_add_f32_e32 v2, v29, v193
	v_dual_add_f32 v5, v193, v195 :: v_dual_add_f32 v4, v192, v194
	v_and_b32_e32 v6, 0xffff, v6
	ds_store_b64 v7, v[16:17] offset:432
	v_dual_add_f32 v3, v2, v195 :: v_dual_add_f32 v2, v28, v192
	v_fma_f32 v4, -0.5, v4, v28
	v_fma_f32 v5, -0.5, v5, v29
	v_lshlrev_b32_e32 v12, 3, v6
	s_delay_alu instid0(VALU_DEP_4) | instskip(NEXT) | instid1(VALU_DEP_4)
	v_add_f32_e32 v2, v2, v194
	v_fmamk_f32 v6, v10, 0x3f5db3d7, v4
	s_delay_alu instid0(VALU_DEP_4)
	v_dual_fmamk_f32 v7, v11, 0xbf5db3d7, v5 :: v_dual_fmac_f32 v4, 0xbf5db3d7, v10
	v_dual_fmac_f32 v5, 0x3f5db3d7, v11 :: v_dual_sub_f32 v10, v200, v196
	ds_store_2addr_b64 v12, v[2:3], v[6:7] offset1:27
	v_add_f32_e32 v2, v31, v201
	ds_store_b64 v12, v[4:5] offset:432
	v_mad_u16 v4, 0x51, v187, v189
	v_add_f32_e32 v5, v201, v197
	v_dual_add_f32 v7, v200, v196 :: v_dual_sub_f32 v6, v201, v197
	v_add_f32_e32 v3, v2, v197
	s_delay_alu instid0(VALU_DEP_3) | instskip(NEXT) | instid1(VALU_DEP_3)
	v_dual_add_f32 v2, v30, v200 :: v_dual_fmac_f32 v31, -0.5, v5
	v_fma_f32 v30, -0.5, v7, v30
	v_and_b32_e32 v4, 0xffff, v4
	s_delay_alu instid0(VALU_DEP_3) | instskip(NEXT) | instid1(VALU_DEP_4)
	v_add_f32_e32 v2, v2, v196
	v_fmamk_f32 v5, v10, 0xbf5db3d7, v31
	v_fmac_f32_e32 v31, 0x3f5db3d7, v10
	s_delay_alu instid0(VALU_DEP_4)
	v_dual_fmamk_f32 v4, v6, 0x3f5db3d7, v30 :: v_dual_lshlrev_b32 v7, 3, v4
	v_fmac_f32_e32 v30, 0xbf5db3d7, v6
	s_clause 0x2
	scratch_store_b32 off, v41, off offset:340
	scratch_store_b32 off, v12, off offset:312
	;; [unrolled: 1-line block ×3, first 2 shown]
	ds_store_2addr_b64 v7, v[2:3], v[4:5] offset1:27
	v_mul_f32_e32 v2, v40, v103
	v_add_f32_e32 v3, v1, v203
	ds_store_b64 v7, v[30:31] offset:432
	v_mad_u16 v5, 0x51, v198, v199
	v_lshrrev_b16 v198, 14, v9
	v_fma_f32 v4, v39, v102, -v2
	v_mul_f32_e32 v2, v39, v103
	v_lshrrev_b16 v199, 14, v8
	s_delay_alu instid0(VALU_DEP_4) | instskip(NEXT) | instid1(VALU_DEP_4)
	v_mul_lo_u16 v9, 0x51, v198
	v_add_f32_e32 v10, v202, v4
	s_delay_alu instid0(VALU_DEP_4) | instskip(NEXT) | instid1(VALU_DEP_4)
	v_dual_fmac_f32 v2, v40, v102 :: v_dual_sub_f32 v11, v202, v4
	v_mul_lo_u16 v8, 0x51, v199
	s_delay_alu instid0(VALU_DEP_4) | instskip(NEXT) | instid1(VALU_DEP_3)
	v_sub_nc_u16 v9, v36, v9
	v_sub_f32_e32 v6, v203, v2
	v_add_f32_e32 v7, v203, v2
	v_add_f32_e32 v3, v3, v2
	;; [unrolled: 1-line block ×3, first 2 shown]
	v_fma_f32 v0, -0.5, v10, v0
	v_sub_nc_u16 v8, v248, v8
	v_dual_fmac_f32 v1, -0.5, v7 :: v_dual_and_b32 v200, 0xff, v9
	s_delay_alu instid0(VALU_DEP_4) | instskip(SKIP_1) | instid1(VALU_DEP_4)
	v_add_f32_e32 v2, v2, v4
	v_and_b32_e32 v4, 0xffff, v5
	v_and_b32_e32 v201, 0xff, v8
	s_delay_alu instid0(VALU_DEP_4) | instskip(SKIP_1) | instid1(VALU_DEP_4)
	v_fmamk_f32 v5, v11, 0xbf5db3d7, v1
	v_fmac_f32_e32 v1, 0x3f5db3d7, v11
	v_dual_fmamk_f32 v4, v6, 0x3f5db3d7, v0 :: v_dual_lshlrev_b32 v7, 3, v4
	v_fmac_f32_e32 v0, 0xbf5db3d7, v6
	s_clause 0x1
	scratch_store_b32 off, v207, off offset:332
	scratch_store_b32 off, v7, off offset:308
	ds_store_2addr_b64 v7, v[2:3], v[4:5] offset1:27
	ds_store_b64 v7, v[0:1] offset:432
	v_add_co_u32 v0, s2, 0xffffffee, v206
	s_wait_alu 0xf1ff
	v_add_co_ci_u32_e64 v1, null, 0, -1, s2
	v_lshlrev_b32_e32 v2, 4, v206
	s_delay_alu instid0(VALU_DEP_3)
	v_cndmask_b32_e32 v16, v0, v59, vcc_lo
	global_wb scope:SCOPE_SE
	s_wait_storecnt_dscnt 0x0
	v_cndmask_b32_e32 v17, v1, v60, vcc_lo
	s_barrier_signal -1
	s_barrier_wait -1
	global_inv scope:SCOPE_SE
	scratch_store_b32 off, v206, off        ; 4-byte Folded Spill
	v_lshlrev_b64_e32 v[0:1], 4, v[16:17]
	v_add_co_u32 v20, s2, s10, v20
	s_wait_alu 0xf1ff
	v_add_co_ci_u32_e64 v21, null, s11, 0, s2
	s_delay_alu instid0(VALU_DEP_3)
	v_add_co_u32 v0, vcc_lo, s10, v0
	s_wait_alu 0xfffd
	v_add_co_ci_u32_e32 v1, vcc_lo, s11, v1, vcc_lo
	s_clause 0x1
	global_load_b128 v[4:7], v[0:1], off offset:624
	global_load_b128 v[0:3], v2, s[10:11] offset:624
	ds_load_2addr_b64 v[10:13], v50 offset0:110 offset1:173
	ds_load_2addr_b64 v[28:31], v49 offset0:118 offset1:181
	v_cmp_lt_u16_e32 vcc_lo, 17, v48
	s_wait_loadcnt_dscnt 0x100
	v_mul_f32_e32 v8, v29, v5
	s_wait_loadcnt 0x0
	v_mul_f32_e32 v14, v11, v3
	v_mul_f32_e32 v17, v10, v3
	;; [unrolled: 1-line block ×4, first 2 shown]
	v_fma_f32 v202, v28, v4, -v8
	v_fma_f32 v40, v10, v2, -v14
	v_mul_f32_e32 v10, v13, v7
	v_lshlrev_b32_e32 v8, 4, v200
	scratch_store_b128 off, v[4:7], off offset:256 ; 16-byte Folded Spill
	v_fmac_f32_e32 v17, v11, v2
	v_fmac_f32_e32 v197, v13, v6
	v_fma_f32 v196, v12, v6, -v10
	v_dual_fmac_f32 v203, v29, v4 :: v_dual_lshlrev_b32 v12, 4, v201
	s_clause 0x1
	global_load_b128 v[4:7], v8, s[10:11] offset:624
	global_load_b128 v[8:11], v12, s[10:11] offset:624
	s_wait_loadcnt 0x1
	v_mul_f32_e32 v28, v31, v5
	v_mul_f32_e32 v205, v30, v5
	scratch_store_b128 off, v[4:7], off offset:272 ; 16-byte Folded Spill
	s_wait_loadcnt 0x0
	scratch_store_b128 off, v[8:11], off offset:428 ; 16-byte Folded Spill
	v_fma_f32 v204, v30, v4, -v28
	v_fmac_f32_e32 v205, v31, v4
	ds_load_2addr_b64 v[28:31], v55 offset0:108 offset1:171
	s_wait_dscnt 0x0
	v_mul_f32_e32 v36, v29, v7
	v_mul_f32_e32 v207, v28, v7
	;; [unrolled: 1-line block ×3, first 2 shown]
	s_delay_alu instid0(VALU_DEP_3) | instskip(NEXT) | instid1(VALU_DEP_3)
	v_fma_f32 v206, v28, v6, -v36
	v_dual_mul_f32 v28, v31, v11 :: v_dual_fmac_f32 v207, v29, v6
	s_delay_alu instid0(VALU_DEP_3) | instskip(SKIP_1) | instid1(VALU_DEP_3)
	v_fmac_f32_e32 v209, v31, v10
	v_add_co_u32 v36, s2, s10, v22
	v_fma_f32 v208, v30, v10, -v28
	ds_load_2addr_b64 v[28:31], v57 offset0:116 offset1:179
	s_wait_alu 0xf1ff
	v_add_co_ci_u32_e64 v37, null, s11, 0, s2
	s_wait_dscnt 0x0
	v_mul_f32_e32 v22, v29, v9
	v_mul_f32_e32 v214, v28, v9
	s_delay_alu instid0(VALU_DEP_2)
	v_fma_f32 v213, v28, v8, -v22
	s_clause 0x1
	global_load_b128 v[20:23], v[20:21], off offset:624
	global_load_b128 v[36:39], v[36:37], off offset:624
	ds_load_2addr_b64 v[192:195], v54 offset0:120 offset1:183
	ds_load_2addr_b64 v[24:27], v255 offset1:63
	v_fmac_f32_e32 v214, v29, v8
	scratch_store_b128 off, v[0:3], off offset:240 ; 16-byte Folded Spill
	s_wait_dscnt 0x1
	v_mul_f32_e32 v18, v195, v1
	s_delay_alu instid0(VALU_DEP_1) | instskip(SKIP_1) | instid1(VALU_DEP_1)
	v_fma_f32 v19, v194, v0, -v18
	v_mul_f32_e32 v18, v194, v1
	v_fmac_f32_e32 v18, v195, v0
	s_delay_alu instid0(VALU_DEP_1) | instskip(SKIP_4) | instid1(VALU_DEP_2)
	v_add_f32_e32 v29, v18, v17
	v_sub_f32_e32 v194, v18, v17
	s_wait_loadcnt 0x1
	v_mul_f32_e32 v28, v31, v21
	v_mul_f32_e32 v216, v30, v21
	v_fma_f32 v215, v30, v20, -v28
	s_wait_dscnt 0x0
	v_add_f32_e32 v28, v25, v18
	v_fma_f32 v25, -0.5, v29, v25
	v_lshlrev_b16 v29, 4, v220
	v_fmac_f32_e32 v216, v31, v20
	s_delay_alu instid0(VALU_DEP_4) | instskip(SKIP_1) | instid1(VALU_DEP_4)
	v_add_f32_e32 v18, v28, v17
	v_dual_add_f32 v28, v19, v40 :: v_dual_add_f32 v17, v24, v19
	v_and_b32_e32 v30, 0xffff, v29
	v_lshlrev_b16 v29, 4, v221
	v_sub_f32_e32 v19, v19, v40
	s_delay_alu instid0(VALU_DEP_4) | instskip(SKIP_1) | instid1(VALU_DEP_4)
	v_fma_f32 v24, -0.5, v28, v24
	v_lshlrev_b16 v28, 4, v218
	v_dual_add_f32 v17, v17, v40 :: v_dual_and_b32 v40, 0xffff, v29
	s_delay_alu instid0(VALU_DEP_4) | instskip(NEXT) | instid1(VALU_DEP_4)
	v_fmamk_f32 v189, v19, 0xbf5db3d7, v25
	v_fmamk_f32 v188, v194, 0x3f5db3d7, v24
	s_delay_alu instid0(VALU_DEP_4) | instskip(SKIP_3) | instid1(VALU_DEP_4)
	v_and_b32_e32 v28, 0xffff, v28
	v_fmac_f32_e32 v24, 0xbf5db3d7, v194
	v_fmac_f32_e32 v25, 0x3f5db3d7, v19
	v_add_f32_e32 v19, v202, v196
	v_add_co_u32 v28, s2, s10, v28
	s_wait_alu 0xf1ff
	v_add_co_ci_u32_e64 v29, null, s11, 0, s2
	v_add_co_u32 v30, s2, s10, v30
	s_wait_alu 0xf1ff
	v_add_co_ci_u32_e64 v31, null, s11, 0, s2
	;; [unrolled: 3-line block ×3, first 2 shown]
	s_clause 0x2
	global_load_b128 v[72:75], v[28:29], off offset:624
	global_load_b128 v[76:79], v[30:31], off offset:624
	global_load_b128 v[80:83], v[40:41], off offset:624
	ds_load_b64 v[190:191], v255 offset:13104
	ds_load_2addr_b64 v[28:31], v56 offset0:124 offset1:187
	ds_load_2addr_b64 v[40:43], v58 offset0:104 offset1:167
	;; [unrolled: 1-line block ×7, first 2 shown]
	global_wb scope:SCOPE_SE
	s_wait_storecnt 0x0
	s_wait_loadcnt_dscnt 0x0
	s_barrier_signal -1
	s_barrier_wait -1
	global_inv scope:SCOPE_SE
	ds_store_2addr_b64 v255, v[17:18], v[188:189] offset1:81
	s_wait_alu 0xfffd
	v_cndmask_b32_e64 v17, 0, 0xf3, vcc_lo
	v_add_f32_e32 v18, v203, v197
	ds_store_b64 v255, v[24:25] offset:1296
	v_dual_sub_f32 v24, v203, v197 :: v_dual_sub_f32 v25, v202, v196
	v_add_lshl_u32 v0, v16, v17, 3
	v_dual_add_f32 v16, v27, v203 :: v_dual_fmac_f32 v27, -0.5, v18
	s_load_b64 s[2:3], s[0:1], 0x38
	v_cmp_gt_u16_e32 vcc_lo, 54, v48
	scratch_store_b32 off, v0, off offset:292 ; 4-byte Folded Spill
	v_dual_add_f32 v17, v16, v197 :: v_dual_add_f32 v16, v26, v202
	v_fma_f32 v26, -0.5, v19, v26
	v_fmamk_f32 v19, v25, 0xbf5db3d7, v27
	s_delay_alu instid0(VALU_DEP_3) | instskip(NEXT) | instid1(VALU_DEP_3)
	v_dual_fmac_f32 v27, 0x3f5db3d7, v25 :: v_dual_add_f32 v16, v16, v196
	v_fmamk_f32 v18, v24, 0x3f5db3d7, v26
	v_fmac_f32_e32 v26, 0xbf5db3d7, v24
	v_and_b32_e32 v24, 0xffff, v198
	ds_store_2addr_b64 v0, v[16:17], v[18:19] offset1:81
	v_dual_add_f32 v19, v205, v207 :: v_dual_add_f32 v18, v204, v206
	ds_store_b64 v0, v[26:27] offset:1296
	v_add_f32_e32 v16, v57, v205
	v_dual_sub_f32 v26, v205, v207 :: v_dual_sub_f32 v27, v204, v206
	v_fma_f32 v18, -0.5, v18, v56
	v_fma_f32 v19, -0.5, v19, v57
	v_mul_u32_u24_e32 v24, 0xf3, v24
	v_add_f32_e32 v17, v16, v207
	s_delay_alu instid0(VALU_DEP_3) | instskip(NEXT) | instid1(VALU_DEP_3)
	v_dual_add_f32 v16, v56, v204 :: v_dual_fmamk_f32 v25, v27, 0xbf5db3d7, v19
	v_add_lshl_u32 v0, v24, v200, 3
	v_fmamk_f32 v24, v26, 0x3f5db3d7, v18
	v_fmac_f32_e32 v18, 0xbf5db3d7, v26
	s_delay_alu instid0(VALU_DEP_4)
	v_dual_fmac_f32 v19, 0x3f5db3d7, v27 :: v_dual_add_f32 v16, v16, v206
	scratch_store_b32 off, v0, off offset:296 ; 4-byte Folded Spill
	ds_store_b64 v0, v[18:19] offset:1296
	v_add_f32_e32 v18, v214, v209
	ds_store_2addr_b64 v0, v[16:17], v[24:25] offset1:81
	v_dual_add_f32 v16, v59, v214 :: v_dual_add_f32 v19, v213, v208
	v_dual_sub_f32 v24, v214, v209 :: v_dual_fmac_f32 v59, -0.5, v18
	s_delay_alu instid0(VALU_DEP_2) | instskip(SKIP_1) | instid1(VALU_DEP_4)
	v_dual_add_f32 v17, v16, v209 :: v_dual_and_b32 v18, 0xffff, v199
	v_dual_add_f32 v16, v58, v213 :: v_dual_sub_f32 v25, v213, v208
	v_fma_f32 v58, -0.5, v19, v58
	s_delay_alu instid0(VALU_DEP_3) | instskip(NEXT) | instid1(VALU_DEP_3)
	v_mul_u32_u24_e32 v18, 0xf3, v18
	v_dual_add_f32 v16, v16, v208 :: v_dual_fmamk_f32 v19, v25, 0xbf5db3d7, v59
	v_fmac_f32_e32 v59, 0x3f5db3d7, v25
	s_delay_alu instid0(VALU_DEP_3)
	v_add_lshl_u32 v0, v18, v201, 3
	v_fmamk_f32 v18, v24, 0x3f5db3d7, v58
	v_fmac_f32_e32 v58, 0xbf5db3d7, v24
	scratch_store_b32 off, v0, off offset:300 ; 4-byte Folded Spill
	ds_store_2addr_b64 v0, v[16:17], v[18:19] offset1:81
	v_mul_f32_e32 v16, v60, v23
	v_mul_f32_e32 v17, v61, v23
	ds_store_b64 v0, v[58:59] offset:1296
	v_fmac_f32_e32 v16, v61, v22
	v_fma_f32 v18, v60, v22, -v17
	v_add_f32_e32 v17, v29, v216
	s_delay_alu instid0(VALU_DEP_3) | instskip(SKIP_1) | instid1(VALU_DEP_3)
	v_sub_f32_e32 v26, v216, v16
	v_add_f32_e32 v19, v216, v16
	v_dual_add_f32 v17, v17, v16 :: v_dual_add_f32 v16, v28, v215
	v_add_f32_e32 v24, v215, v18
	v_sub_f32_e32 v27, v215, v18
	s_delay_alu instid0(VALU_DEP_4) | instskip(NEXT) | instid1(VALU_DEP_4)
	v_fma_f32 v19, -0.5, v19, v29
	v_add_f32_e32 v16, v16, v18
	s_delay_alu instid0(VALU_DEP_4) | instskip(SKIP_1) | instid1(VALU_DEP_4)
	v_fma_f32 v18, -0.5, v24, v28
	v_and_b32_e32 v24, 0xffff, v210
	v_fmamk_f32 v25, v27, 0xbf5db3d7, v19
	s_delay_alu instid0(VALU_DEP_2) | instskip(NEXT) | instid1(VALU_DEP_4)
	v_dual_fmac_f32 v19, 0x3f5db3d7, v27 :: v_dual_lshlrev_b32 v0, 3, v24
	v_fmamk_f32 v24, v26, 0x3f5db3d7, v18
	v_fmac_f32_e32 v18, 0xbf5db3d7, v26
	s_delay_alu instid0(VALU_DEP_3)
	v_add_nc_u32_e32 v28, 0x1400, v0
	scratch_store_b32 off, v0, off offset:320 ; 4-byte Folded Spill
	ds_store_b64 v0, v[18:19] offset:7128
	v_mad_u16 v18, 0xf3, v211, v212
	ds_store_2addr_b64 v28, v[16:17], v[24:25] offset0:89 offset1:170
	v_dual_mul_f32 v17, v157, v37 :: v_dual_mul_f32 v16, v63, v39
	v_and_b32_e32 v18, 0xffff, v18
	s_delay_alu instid0(VALU_DEP_2) | instskip(SKIP_1) | instid1(VALU_DEP_4)
	v_fma_f32 v25, v156, v36, -v17
	v_mul_f32_e32 v17, v156, v37
	v_fma_f32 v24, v62, v38, -v16
	v_mul_f32_e32 v16, v62, v39
	s_delay_alu instid0(VALU_DEP_3) | instskip(NEXT) | instid1(VALU_DEP_2)
	v_dual_fmac_f32 v17, v157, v36 :: v_dual_lshlrev_b32 v0, 3, v18
	v_fmac_f32_e32 v16, v63, v38
	scratch_store_b32 off, v0, off offset:344 ; 4-byte Folded Spill
	v_dual_add_f32 v19, v31, v17 :: v_dual_sub_f32 v26, v17, v16
	v_add_f32_e32 v27, v17, v16
	s_delay_alu instid0(VALU_DEP_2) | instskip(SKIP_1) | instid1(VALU_DEP_2)
	v_dual_add_f32 v17, v19, v16 :: v_dual_add_f32 v16, v30, v25
	v_add_f32_e32 v19, v25, v24
	v_dual_fmac_f32 v31, -0.5, v27 :: v_dual_add_f32 v16, v16, v24
	v_sub_f32_e32 v24, v25, v24
	s_delay_alu instid0(VALU_DEP_3) | instskip(NEXT) | instid1(VALU_DEP_2)
	v_fma_f32 v30, -0.5, v19, v30
	v_fmamk_f32 v19, v24, 0xbf5db3d7, v31
	s_delay_alu instid0(VALU_DEP_2)
	v_dual_fmamk_f32 v18, v26, 0x3f5db3d7, v30 :: v_dual_fmac_f32 v31, 0x3f5db3d7, v24
	v_mad_u16 v24, 0xf3, v217, v218
	v_fmac_f32_e32 v30, 0xbf5db3d7, v26
	ds_store_2addr_b64 v0, v[16:17], v[18:19] offset1:81
	v_and_b32_e32 v24, 0xffff, v24
	ds_store_b64 v0, v[30:31] offset:1296
	v_lshlrev_b32_e32 v0, 3, v24
	v_mul_f32_e32 v56, v41, v75
	v_mul_f32_e32 v28, v159, v73
	;; [unrolled: 1-line block ×5, first 2 shown]
	v_fma_f32 v56, v40, v74, -v56
	v_mul_f32_e32 v40, v40, v75
	v_fma_f32 v28, v158, v72, -v28
	v_fmac_f32_e32 v29, v159, v72
	v_fmac_f32_e32 v57, v185, v76
	s_delay_alu instid0(VALU_DEP_4) | instskip(NEXT) | instid1(VALU_DEP_4)
	v_dual_mul_f32 v59, v186, v81 :: v_dual_fmac_f32 v40, v41, v74
	v_add_f32_e32 v18, v28, v56
	s_delay_alu instid0(VALU_DEP_4) | instskip(SKIP_1) | instid1(VALU_DEP_4)
	v_dual_add_f32 v16, v181, v29 :: v_dual_mul_f32 v41, v43, v79
	v_sub_f32_e32 v27, v28, v56
	v_add_f32_e32 v19, v29, v40
	v_sub_f32_e32 v26, v29, v40
	s_delay_alu instid0(VALU_DEP_4)
	v_add_f32_e32 v17, v16, v40
	v_add_f32_e32 v16, v180, v28
	v_fma_f32 v18, -0.5, v18, v180
	v_fma_f32 v19, -0.5, v19, v181
	v_fma_f32 v41, v42, v78, -v41
	v_mul_f32_e32 v42, v42, v79
	v_add_f32_e32 v16, v16, v56
	v_fmamk_f32 v24, v26, 0x3f5db3d7, v18
	v_fmamk_f32 v25, v27, 0xbf5db3d7, v19
	v_fma_f32 v58, v186, v80, -v58
	v_dual_fmac_f32 v42, v43, v78 :: v_dual_mul_f32 v43, v185, v77
	v_fmac_f32_e32 v59, v187, v80
	ds_store_2addr_b64 v0, v[16:17], v[24:25] offset1:81
	v_mul_f32_e32 v17, v190, v83
	v_mul_f32_e32 v16, v191, v83
	v_fma_f32 v43, v184, v76, -v43
	v_add_f32_e32 v24, v183, v57
	v_fmac_f32_e32 v18, 0xbf5db3d7, v26
	v_fmac_f32_e32 v17, v191, v82
	v_fma_f32 v16, v190, v82, -v16
	v_fmac_f32_e32 v19, 0x3f5db3d7, v27
	v_dual_add_f32 v195, v24, v42 :: v_dual_add_f32 v24, v43, v41
	s_delay_alu instid0(VALU_DEP_4)
	v_dual_add_f32 v27, v193, v59 :: v_dual_add_f32 v28, v59, v17
	v_add_f32_e32 v29, v192, v58
	ds_store_b64 v0, v[18:19] offset:1296
	v_mad_u16 v18, 0xf3, v219, v220
	v_dual_add_f32 v25, v57, v42 :: v_dual_add_f32 v26, v182, v43
	v_fma_f32 v182, -0.5, v24, v182
	v_sub_f32_e32 v24, v59, v17
	v_dual_add_f32 v201, v27, v17 :: v_dual_add_f32 v200, v29, v16
	v_add_f32_e32 v17, v58, v16
	v_sub_f32_e32 v16, v58, v16
	v_fmac_f32_e32 v193, -0.5, v28
	v_dual_sub_f32 v19, v57, v42 :: v_dual_add_f32 v194, v26, v41
	v_sub_f32_e32 v26, v43, v41
	v_fmac_f32_e32 v183, -0.5, v25
	s_delay_alu instid0(VALU_DEP_4)
	v_fmamk_f32 v203, v16, 0xbf5db3d7, v193
	v_fmac_f32_e32 v193, 0x3f5db3d7, v16
	v_and_b32_e32 v16, 0xffff, v18
	v_fma_f32 v192, -0.5, v17, v192
	v_and_b32_e32 v17, 0xffff, v221
	v_fmamk_f32 v196, v19, 0x3f5db3d7, v182
	s_delay_alu instid0(VALU_DEP_4)
	v_dual_fmac_f32 v182, 0xbf5db3d7, v19 :: v_dual_lshlrev_b32 v1, 3, v16
	v_fmamk_f32 v197, v26, 0xbf5db3d7, v183
	v_fmac_f32_e32 v183, 0x3f5db3d7, v26
	scratch_store_b32 off, v0, off offset:288 ; 4-byte Folded Spill
	v_lshlrev_b32_e32 v0, 3, v17
	scratch_store_b32 off, v1, off offset:352 ; 4-byte Folded Spill
	ds_store_2addr_b64 v1, v[194:195], v[196:197] offset1:81
	ds_store_b64 v1, v[182:183] offset:1296
	v_add_co_u32 v1, s0, s8, v255
	v_fmamk_f32 v202, v24, 0x3f5db3d7, v192
	v_fmac_f32_e32 v192, 0xbf5db3d7, v24
	v_add_nc_u32_e32 v16, 0x2c00, v0
	s_wait_alu 0xf1ff
	v_add_co_ci_u32_e64 v2, null, s9, 0, s0
	ds_store_2addr_b64 v16, v[200:201], v[202:203] offset0:50 offset1:131
	s_clause 0x1
	scratch_store_b64 off, v[1:2], off offset:476
	scratch_store_b32 off, v0, off offset:348
	ds_store_b64 v0, v[192:193] offset:12960
	global_wb scope:SCOPE_SE
	s_wait_storecnt_dscnt 0x0
	s_wait_kmcnt 0x0
	s_barrier_signal -1
	s_barrier_wait -1
	global_inv scope:SCOPE_SE
                                        ; implicit-def: $vgpr0
	scratch_store_b64 off, v[0:1], off offset:4 ; 8-byte Folded Spill
	ds_load_b64 v[180:181], v255 offset:12672
	ds_load_2addr_b64 v[24:27], v54 offset0:102 offset1:165
	ds_load_2addr_b64 v[214:217], v49 offset0:100 offset1:217
	ds_load_2addr_b64 v[60:63], v53 offset0:76 offset1:139
	ds_load_2addr_b64 v[156:159], v50 offset0:74 offset1:191
	ds_load_2addr_b64 v[56:59], v51 offset0:178 offset1:241
	ds_load_2addr_b64 v[188:191], v52 offset0:24 offset1:87
	ds_load_2addr_b64 v[206:209], v255 offset1:63
	ds_load_2addr_b64 v[184:187], v255 offset0:126 offset1:243
	ds_load_2addr_b64 v[218:221], v222 offset0:50 offset1:113
	;; [unrolled: 1-line block ×3, first 2 shown]
	s_and_saveexec_b32 s0, vcc_lo
	s_cbranch_execz .LBB0_3
; %bb.2:
	v_add_nc_u32_e32 v16, 0x1500, v255
	ds_load_2addr_b64 v[202:205], v55 offset0:9 offset1:252
	ds_load_2addr_b64 v[198:201], v16 offset0:3 offset1:246
	v_add_nc_u32_e32 v16, 0x5c0, v255
	ds_load_b64 v[0:1], v255 offset:13176
	s_wait_dscnt 0x1
	v_dual_mov_b32 v192, v204 :: v_dual_mov_b32 v183, v199
	ds_load_2addr_b64 v[194:197], v16 offset0:5 offset1:248
	v_dual_mov_b32 v193, v205 :: v_dual_mov_b32 v182, v198
	s_wait_dscnt 0x1
	scratch_store_b64 off, v[0:1], off offset:4 ; 8-byte Folded Spill
.LBB0_3:
	s_wait_alu 0xfffe
	s_or_b32 exec_lo, exec_lo, s0
	scratch_load_b32 v0, off, off           ; 4-byte Folded Reload
	s_wait_loadcnt 0x0
	v_mad_co_u64_u32 v[198:199], null, v0, 48, s[10:11]
	s_clause 0x1
	global_load_b128 v[16:19], v[198:199], off offset:1920
	global_load_b128 v[48:51], v[198:199], off offset:1936
	s_wait_loadcnt_dscnt 0x109
	v_mul_f32_e32 v28, v25, v19
	v_mul_f32_e32 v223, v24, v19
	s_wait_loadcnt_dscnt 0x8
	v_mul_f32_e32 v231, v216, v49
	s_delay_alu instid0(VALU_DEP_3)
	v_fma_f32 v222, v24, v18, -v28
	s_clause 0x1
	global_load_b128 v[28:31], v[198:199], off offset:4944
	global_load_b128 v[52:55], v[198:199], off offset:1952
	v_fmac_f32_e32 v223, v25, v18
	s_wait_dscnt 0x7
	v_mul_f32_e32 v225, v60, v51
	s_wait_loadcnt 0x1
	v_dual_fmac_f32 v231, v217, v48 :: v_dual_mul_f32 v24, v27, v31
	v_mul_f32_e32 v205, v26, v31
	s_wait_loadcnt_dscnt 0x1
	v_dual_mul_f32 v227, v56, v55 :: v_dual_mul_f32 v254, v218, v29
	s_delay_alu instid0(VALU_DEP_3) | instskip(NEXT) | instid1(VALU_DEP_3)
	v_fma_f32 v204, v26, v30, -v24
	v_dual_mul_f32 v24, v61, v51 :: v_dual_fmac_f32 v205, v27, v30
	s_delay_alu instid0(VALU_DEP_3) | instskip(NEXT) | instid1(VALU_DEP_2)
	v_fmac_f32_e32 v227, v57, v54
	v_fma_f32 v224, v60, v50, -v24
	s_clause 0x1
	global_load_b128 v[40:43], v[198:199], off offset:4960
	global_load_b128 v[24:27], v[198:199], off offset:4976
	v_fmac_f32_e32 v254, v219, v28
	s_wait_loadcnt 0x1
	v_mul_f32_e32 v60, v63, v43
	s_wait_loadcnt 0x0
	v_mul_f32_e32 v252, v58, v27
	v_dual_mul_f32 v250, v62, v43 :: v_dual_mul_f32 v229, v188, v41
	s_delay_alu instid0(VALU_DEP_3) | instskip(SKIP_1) | instid1(VALU_DEP_3)
	v_fma_f32 v249, v62, v42, -v60
	v_mul_f32_e32 v60, v57, v55
	v_fmac_f32_e32 v250, v63, v42
	s_delay_alu instid0(VALU_DEP_4) | instskip(NEXT) | instid1(VALU_DEP_3)
	v_dual_fmac_f32 v252, v59, v26 :: v_dual_fmac_f32 v229, v189, v40
	v_fma_f32 v226, v56, v54, -v60
	s_delay_alu instid0(VALU_DEP_2) | instskip(NEXT) | instid1(VALU_DEP_1)
	v_dual_mul_f32 v56, v59, v27 :: v_dual_add_f32 v247, v229, v250
	v_fma_f32 v251, v58, v26, -v56
	v_dual_mul_f32 v56, v219, v29 :: v_dual_fmac_f32 v225, v61, v50
	s_delay_alu instid0(VALU_DEP_1) | instskip(SKIP_4) | instid1(VALU_DEP_1)
	v_fma_f32 v253, v218, v28, -v56
	s_clause 0x1
	global_load_b128 v[56:59], v[198:199], off offset:7968
	global_load_b128 v[60:63], v[198:199], off offset:7984
	v_dual_mul_f32 v233, v158, v53 :: v_dual_add_f32 v242, v253, v251
	v_fmac_f32_e32 v233, v159, v52
	s_delay_alu instid0(VALU_DEP_1) | instskip(SKIP_3) | instid1(VALU_DEP_2)
	v_add_f32_e32 v239, v223, v233
	s_wait_loadcnt 0x1
	v_mul_f32_e32 v218, v221, v57
	v_mul_f32_e32 v219, v220, v57
	v_fma_f32 v218, v220, v56, -v218
	v_mul_f32_e32 v220, v217, v49
	s_delay_alu instid0(VALU_DEP_3) | instskip(SKIP_4) | instid1(VALU_DEP_3)
	v_fmac_f32_e32 v219, v221, v56
	s_wait_loadcnt 0x0
	v_mul_f32_e32 v221, v156, v63
	v_mul_f32_e32 v217, v190, v61
	v_fma_f32 v230, v216, v48, -v220
	v_dual_mul_f32 v216, v215, v59 :: v_dual_fmac_f32 v221, v157, v62
	s_delay_alu instid0(VALU_DEP_3) | instskip(NEXT) | instid1(VALU_DEP_3)
	v_fmac_f32_e32 v217, v191, v60
	v_add_f32_e32 v236, v230, v224
	s_delay_alu instid0(VALU_DEP_3) | instskip(NEXT) | instid1(VALU_DEP_3)
	v_fma_f32 v216, v214, v58, -v216
	v_dual_mul_f32 v214, v214, v59 :: v_dual_add_f32 v9, v217, v221
	s_delay_alu instid0(VALU_DEP_1) | instskip(SKIP_1) | instid1(VALU_DEP_2)
	v_dual_fmac_f32 v214, v215, v58 :: v_dual_mul_f32 v215, v189, v41
	v_add_f32_e32 v245, v254, v252
	v_fma_f32 v228, v188, v40, -v215
	v_mul_f32_e32 v188, v191, v61
	s_delay_alu instid0(VALU_DEP_1) | instskip(SKIP_1) | instid1(VALU_DEP_1)
	v_fma_f32 v215, v190, v60, -v188
	v_mul_f32_e32 v188, v159, v53
	v_fma_f32 v232, v158, v52, -v188
	v_mul_f32_e32 v158, v157, v63
	s_delay_alu instid0(VALU_DEP_1) | instskip(SKIP_1) | instid1(VALU_DEP_2)
	v_fma_f32 v220, v156, v62, -v158
	v_subrev_nc_u32_e32 v156, 54, v0
	v_add_f32_e32 v5, v215, v220
	s_delay_alu instid0(VALU_DEP_2) | instskip(SKIP_1) | instid1(VALU_DEP_2)
	v_cndmask_b32_e32 v156, v156, v248, vcc_lo
	v_add_f32_e32 v248, v228, v249
	v_mul_i32_i24_e32 v157, 48, v156
	s_delay_alu instid0(VALU_DEP_1) | instskip(SKIP_4) | instid1(VALU_DEP_1)
	v_add_co_u32 v234, s0, s10, v157
	s_wait_dscnt 0x0
	v_mul_f32_e32 v157, v210, v25
	v_mul_hi_i32_i24_e32 v156, 48, v156
	s_wait_alu 0xf1ff
	v_add_co_ci_u32_e64 v235, s0, s11, v156, s0
	s_clause 0x1
	global_load_b128 v[188:191], v[198:199], off offset:8000
	global_load_b128 v[12:15], v[234:235], off offset:1920
	v_mul_f32_e32 v198, v187, v17
	s_wait_loadcnt 0x1
	v_dual_fmac_f32 v157, v211, v24 :: v_dual_mul_f32 v158, v213, v189
	v_mul_f32_e32 v159, v212, v189
	v_mul_f32_e32 v156, v211, v25
	s_delay_alu instid0(VALU_DEP_3)
	v_add_f32_e32 v246, v205, v157
	v_mul_f32_e32 v2, v180, v191
	v_fma_f32 v158, v212, v188, -v158
	v_fmac_f32_e32 v159, v213, v188
	v_fma_f32 v156, v210, v24, -v156
	v_add_f32_e32 v213, v222, v232
	v_fma_f32 v210, v186, v16, -v198
	v_dual_add_f32 v240, v231, v225 :: v_dual_mul_f32 v1, v181, v191
	s_delay_alu instid0(VALU_DEP_4) | instskip(NEXT) | instid1(VALU_DEP_3)
	v_dual_add_f32 v243, v204, v156 :: v_dual_fmac_f32 v2, v181, v190
	v_add_f32_e32 v212, v210, v226
	v_mul_f32_e32 v211, v186, v17
	s_delay_alu instid0(VALU_DEP_4) | instskip(NEXT) | instid1(VALU_DEP_4)
	v_fma_f32 v1, v180, v190, -v1
	v_dual_add_f32 v8, v214, v159 :: v_dual_add_f32 v7, v219, v2
	s_delay_alu instid0(VALU_DEP_4) | instskip(NEXT) | instid1(VALU_DEP_4)
	v_add_f32_e32 v186, v213, v212
	v_dual_fmac_f32 v211, v187, v16 :: v_dual_add_f32 v4, v216, v158
	s_delay_alu instid0(VALU_DEP_4) | instskip(SKIP_1) | instid1(VALU_DEP_3)
	v_add_f32_e32 v3, v218, v1
	v_sub_f32_e32 v11, v210, v226
	v_dual_add_f32 v237, v236, v186 :: v_dual_add_f32 v238, v211, v227
	v_sub_f32_e32 v210, v225, v231
	v_dual_sub_f32 v157, v205, v157 :: v_dual_sub_f32 v156, v204, v156
	v_sub_f32_e32 v204, v249, v228
	s_delay_alu instid0(VALU_DEP_4) | instskip(SKIP_1) | instid1(VALU_DEP_2)
	v_dual_add_f32 v186, v239, v238 :: v_dual_sub_f32 v205, v250, v229
	v_sub_f32_e32 v1, v218, v1
	v_add_f32_e32 v241, v240, v186
	v_add_f32_e32 v186, v243, v242
	s_delay_alu instid0(VALU_DEP_1) | instskip(SKIP_1) | instid1(VALU_DEP_2)
	v_dual_add_f32 v187, v207, v241 :: v_dual_add_f32 v244, v248, v186
	v_add_f32_e32 v186, v246, v245
	v_add_f32_e32 v198, v208, v244
	s_delay_alu instid0(VALU_DEP_2) | instskip(SKIP_3) | instid1(VALU_DEP_4)
	v_add_f32_e32 v0, v247, v186
	v_add_f32_e32 v186, v206, v237
	v_dual_sub_f32 v208, v211, v227 :: v_dual_sub_f32 v211, v213, v212
	v_sub_f32_e32 v213, v236, v213
	v_add_f32_e32 v199, v209, v0
	v_sub_f32_e32 v209, v224, v230
	v_add_f32_e32 v10, v8, v7
	s_delay_alu instid0(VALU_DEP_3) | instskip(NEXT) | instid1(VALU_DEP_2)
	v_fmamk_f32 v0, v0, 0xbf955555, v199
	v_add_f32_e32 v10, v9, v10
	s_delay_alu instid0(VALU_DEP_1) | instskip(NEXT) | instid1(VALU_DEP_1)
	v_dual_add_f32 v6, v4, v3 :: v_dual_add_f32 v181, v185, v10
	v_dual_add_f32 v6, v5, v6 :: v_dual_sub_f32 v185, v223, v233
	v_sub_f32_e32 v223, v240, v239
	s_delay_alu instid0(VALU_DEP_2) | instskip(SKIP_1) | instid1(VALU_DEP_4)
	v_dual_fmamk_f32 v233, v241, 0xbf955555, v187 :: v_dual_add_f32 v180, v184, v6
	v_sub_f32_e32 v184, v222, v232
	v_dual_sub_f32 v225, v210, v185 :: v_dual_sub_f32 v226, v185, v208
	v_fmamk_f32 v232, v237, 0xbf955555, v186
	s_delay_alu instid0(VALU_DEP_3) | instskip(NEXT) | instid1(VALU_DEP_3)
	v_sub_f32_e32 v207, v209, v184
	v_mul_f32_e32 v225, 0xbf08b237, v225
	s_delay_alu instid0(VALU_DEP_2) | instskip(SKIP_2) | instid1(VALU_DEP_2)
	v_mul_f32_e32 v231, 0xbf08b237, v207
	v_sub_f32_e32 v224, v184, v11
	v_add_f32_e32 v206, v209, v184
	v_fma_f32 v207, 0x3f5ff5aa, v224, -v231
	v_dual_add_f32 v184, v210, v185 :: v_dual_mul_f32 v185, 0x3d64c772, v223
	s_delay_alu instid0(VALU_DEP_3) | instskip(SKIP_1) | instid1(VALU_DEP_2)
	v_dual_sub_f32 v222, v239, v238 :: v_dual_add_f32 v227, v206, v11
	v_sub_f32_e32 v11, v11, v209
	v_fma_f32 v185, 0x3f3bfb3b, v222, -v185
	s_delay_alu instid0(VALU_DEP_3) | instskip(NEXT) | instid1(VALU_DEP_2)
	v_dual_fmac_f32 v207, 0x3ee1c552, v227 :: v_dual_add_f32 v230, v184, v208
	v_add_f32_e32 v239, v185, v233
	s_delay_alu instid0(VALU_DEP_1) | instskip(SKIP_1) | instid1(VALU_DEP_2)
	v_dual_mul_f32 v184, 0x3d64c772, v213 :: v_dual_add_f32 v185, v207, v239
	v_sub_f32_e32 v207, v239, v207
	v_fma_f32 v184, 0x3f3bfb3b, v211, -v184
	v_fma_f32 v206, 0x3f5ff5aa, v226, -v225
	v_dual_sub_f32 v212, v212, v236 :: v_dual_mul_f32 v209, 0x3f5ff5aa, v226
	v_sub_f32_e32 v236, v238, v240
	s_delay_alu instid0(VALU_DEP_3) | instskip(NEXT) | instid1(VALU_DEP_1)
	v_dual_add_f32 v237, v184, v232 :: v_dual_fmac_f32 v206, 0x3ee1c552, v230
	v_sub_f32_e32 v184, v237, v206
	v_dual_add_f32 v206, v206, v237 :: v_dual_sub_f32 v237, v208, v210
	v_mul_f32_e32 v208, 0x3f5ff5aa, v224
	s_delay_alu instid0(VALU_DEP_2) | instskip(NEXT) | instid1(VALU_DEP_2)
	v_fma_f32 v210, 0xbeae86e6, v237, -v209
	v_fma_f32 v226, 0xbeae86e6, v11, -v208
	v_fmamk_f32 v11, v11, 0x3eae86e6, v231
	v_mul_f32_e32 v224, 0x3f4a47b2, v236
	s_delay_alu instid0(VALU_DEP_4) | instskip(NEXT) | instid1(VALU_DEP_4)
	v_fmac_f32_e32 v210, 0x3ee1c552, v230
	v_fmac_f32_e32 v226, 0x3ee1c552, v227
	s_delay_alu instid0(VALU_DEP_4) | instskip(NEXT) | instid1(VALU_DEP_4)
	v_fmac_f32_e32 v11, 0x3ee1c552, v227
	v_fma_f32 v209, 0xbf3bfb3b, v222, -v224
	s_delay_alu instid0(VALU_DEP_1) | instskip(SKIP_1) | instid1(VALU_DEP_1)
	v_add_f32_e32 v222, v209, v233
	v_mul_f32_e32 v212, 0x3f4a47b2, v212
	v_fma_f32 v208, 0xbf3bfb3b, v211, -v212
	s_delay_alu instid0(VALU_DEP_1) | instskip(NEXT) | instid1(VALU_DEP_1)
	v_add_f32_e32 v211, v208, v232
	v_add_f32_e32 v208, v210, v211
	v_sub_f32_e32 v210, v211, v210
	v_dual_add_f32 v211, v226, v222 :: v_dual_fmamk_f32 v212, v213, 0x3d64c772, v212
	v_fmamk_f32 v213, v223, 0x3d64c772, v224
	s_delay_alu instid0(VALU_DEP_2) | instskip(SKIP_1) | instid1(VALU_DEP_3)
	v_add_f32_e32 v223, v212, v232
	v_dual_sub_f32 v209, v222, v226 :: v_dual_fmamk_f32 v222, v237, 0x3eae86e6, v225
	v_add_f32_e32 v224, v213, v233
	s_delay_alu instid0(VALU_DEP_1) | instskip(NEXT) | instid1(VALU_DEP_1)
	v_dual_fmac_f32 v222, 0x3ee1c552, v230 :: v_dual_sub_f32 v213, v224, v11
	v_add_f32_e32 v212, v222, v223
	v_sub_f32_e32 v222, v223, v222
	v_add_f32_e32 v223, v11, v224
	ds_store_b64 v255, v[212:213] offset:1944
	ds_store_b64 v255, v[208:209] offset:3888
	ds_store_b64 v255, v[184:185] offset:5832
	ds_store_b64 v255, v[206:207] offset:7776
	ds_store_b64 v255, v[210:211] offset:9720
	ds_store_b64 v255, v[222:223] offset:11664
	ds_store_2addr_b64 v255, v[186:187], v[198:199] offset1:63
	v_dual_sub_f32 v199, v254, v252 :: v_dual_add_f32 v186, v205, v157
	v_fmamk_f32 v11, v244, 0xbf955555, v198
	v_dual_sub_f32 v209, v247, v246 :: v_dual_sub_f32 v198, v253, v251
	v_sub_f32_e32 v187, v205, v157
	s_delay_alu instid0(VALU_DEP_4) | instskip(SKIP_4) | instid1(VALU_DEP_3)
	v_sub_f32_e32 v157, v157, v199
	v_add_f32_e32 v211, v186, v199
	v_sub_f32_e32 v185, v204, v156
	v_add_f32_e32 v184, v204, v156
	v_dual_sub_f32 v206, v243, v242 :: v_dual_mul_f32 v213, 0xbf08b237, v187
	v_dual_sub_f32 v207, v248, v243 :: v_dual_mul_f32 v212, 0xbf08b237, v185
	v_dual_mul_f32 v185, 0x3d64c772, v209 :: v_dual_sub_f32 v156, v156, v198
	s_delay_alu instid0(VALU_DEP_4) | instskip(NEXT) | instid1(VALU_DEP_3)
	v_add_f32_e32 v210, v184, v198
	v_dual_mul_f32 v184, 0x3d64c772, v207 :: v_dual_sub_f32 v225, v199, v205
	v_fma_f32 v186, 0x3f5ff5aa, v157, -v213
	s_delay_alu instid0(VALU_DEP_4) | instskip(SKIP_1) | instid1(VALU_DEP_4)
	v_fma_f32 v187, 0x3f5ff5aa, v156, -v212
	v_sub_f32_e32 v208, v246, v245
	v_fma_f32 v184, 0x3f3bfb3b, v206, -v184
	v_mul_f32_e32 v157, 0x3f5ff5aa, v157
	s_delay_alu instid0(VALU_DEP_4) | instskip(NEXT) | instid1(VALU_DEP_4)
	v_fmac_f32_e32 v187, 0x3ee1c552, v210
	v_fma_f32 v185, 0x3f3bfb3b, v208, -v185
	s_delay_alu instid0(VALU_DEP_4) | instskip(NEXT) | instid1(VALU_DEP_4)
	v_add_f32_e32 v222, v184, v11
	v_fma_f32 v157, 0xbeae86e6, v225, -v157
	s_delay_alu instid0(VALU_DEP_3) | instskip(SKIP_1) | instid1(VALU_DEP_3)
	v_add_f32_e32 v223, v185, v0
	v_mul_f32_e32 v156, 0x3f5ff5aa, v156
	v_fmac_f32_e32 v157, 0x3ee1c552, v211
	s_delay_alu instid0(VALU_DEP_3) | instskip(SKIP_2) | instid1(VALU_DEP_1)
	v_add_f32_e32 v185, v187, v223
	v_sub_f32_e32 v187, v223, v187
	v_dual_sub_f32 v223, v245, v247 :: v_dual_sub_f32 v224, v198, v204
	v_mul_f32_e32 v223, 0x3f4a47b2, v223
	s_delay_alu instid0(VALU_DEP_2) | instskip(NEXT) | instid1(VALU_DEP_2)
	v_fma_f32 v156, 0xbeae86e6, v224, -v156
	v_fma_f32 v199, 0xbf3bfb3b, v208, -v223
	s_delay_alu instid0(VALU_DEP_1) | instskip(NEXT) | instid1(VALU_DEP_1)
	v_dual_fmac_f32 v156, 0x3ee1c552, v210 :: v_dual_add_f32 v205, v199, v0
	v_dual_fmac_f32 v186, 0x3ee1c552, v211 :: v_dual_sub_f32 v199, v205, v156
	s_delay_alu instid0(VALU_DEP_1) | instskip(SKIP_2) | instid1(VALU_DEP_1)
	v_sub_f32_e32 v184, v222, v186
	v_add_f32_e32 v186, v186, v222
	v_sub_f32_e32 v222, v242, v248
	v_mul_f32_e32 v222, 0x3f4a47b2, v222
	s_delay_alu instid0(VALU_DEP_1) | instskip(SKIP_1) | instid1(VALU_DEP_2)
	v_fma_f32 v198, 0xbf3bfb3b, v206, -v222
	v_fmamk_f32 v206, v209, 0x3d64c772, v223
	v_add_f32_e32 v204, v198, v11
	s_delay_alu instid0(VALU_DEP_2) | instskip(NEXT) | instid1(VALU_DEP_2)
	v_add_f32_e32 v0, v206, v0
	v_add_f32_e32 v198, v157, v204
	v_dual_sub_f32 v204, v204, v157 :: v_dual_fmamk_f32 v157, v207, 0x3d64c772, v222
	v_fmamk_f32 v207, v224, 0x3eae86e6, v212
	s_delay_alu instid0(VALU_DEP_2) | instskip(NEXT) | instid1(VALU_DEP_2)
	v_add_f32_e32 v11, v157, v11
	v_fmac_f32_e32 v207, 0x3ee1c552, v210
	v_sub_f32_e32 v157, v221, v217
	s_delay_alu instid0(VALU_DEP_2)
	v_add_f32_e32 v209, v207, v0
	v_sub_f32_e32 v207, v0, v207
	v_dual_add_f32 v205, v156, v205 :: v_dual_fmamk_f32 v156, v225, 0x3eae86e6, v213
	v_fmamk_f32 v0, v6, 0xbf955555, v180
	v_fmamk_f32 v6, v10, 0xbf955555, v181
	v_sub_f32_e32 v10, v216, v158
	s_wait_loadcnt 0x0
	v_dual_mul_f32 v225, v196, v13 :: v_dual_fmac_f32 v156, 0x3ee1c552, v211
	s_delay_alu instid0(VALU_DEP_1)
	v_dual_fmac_f32 v225, v197, v12 :: v_dual_add_f32 v206, v156, v11
	v_dual_sub_f32 v208, v11, v156 :: v_dual_sub_f32 v11, v214, v159
	ds_store_b64 v255, v[184:185] offset:6336
	ds_store_b64 v255, v[186:187] offset:8280
	;; [unrolled: 1-line block ×6, first 2 shown]
	v_sub_f32_e32 v159, v7, v9
	v_dual_sub_f32 v158, v3, v5 :: v_dual_sub_f32 v185, v157, v11
	v_dual_sub_f32 v156, v220, v215 :: v_dual_sub_f32 v5, v5, v4
	v_add_f32_e32 v184, v157, v11
	s_delay_alu instid0(VALU_DEP_4) | instskip(NEXT) | instid1(VALU_DEP_4)
	v_mul_f32_e32 v159, 0x3f4a47b2, v159
	v_mul_f32_e32 v209, 0xbf08b237, v185
	s_delay_alu instid0(VALU_DEP_4) | instskip(SKIP_3) | instid1(VALU_DEP_4)
	v_sub_f32_e32 v181, v156, v10
	v_sub_f32_e32 v2, v219, v2
	v_dual_mul_f32 v158, 0x3f4a47b2, v158 :: v_dual_sub_f32 v9, v9, v8
	v_mul_f32_e32 v215, v182, v15
	v_mul_f32_e32 v205, 0xbf08b237, v181
	s_delay_alu instid0(VALU_DEP_4) | instskip(SKIP_1) | instid1(VALU_DEP_4)
	v_dual_sub_f32 v157, v2, v157 :: v_dual_add_f32 v180, v156, v10
	v_add_f32_e32 v208, v184, v2
	v_dual_fmac_f32 v215, v183, v14 :: v_dual_add_nc_u32 v184, 0x800, v255
	s_delay_alu instid0(VALU_DEP_3) | instskip(SKIP_2) | instid1(VALU_DEP_3)
	v_dual_fmamk_f32 v211, v157, 0x3eae86e6, v209 :: v_dual_add_f32 v204, v180, v1
	v_dual_fmamk_f32 v180, v5, 0x3d64c772, v158 :: v_dual_sub_f32 v3, v4, v3
	v_mul_f32_e32 v5, 0x3d64c772, v5
	v_fmac_f32_e32 v211, 0x3ee1c552, v208
	s_delay_alu instid0(VALU_DEP_3) | instskip(SKIP_4) | instid1(VALU_DEP_4)
	v_add_f32_e32 v212, v180, v0
	v_fmamk_f32 v180, v9, 0x3d64c772, v159
	v_dual_sub_f32 v156, v1, v156 :: v_dual_sub_f32 v1, v10, v1
	v_fma_f32 v5, 0x3f3bfb3b, v3, -v5
	v_sub_f32_e32 v4, v8, v7
	v_add_f32_e32 v213, v180, v6
	s_delay_alu instid0(VALU_DEP_4) | instskip(SKIP_3) | instid1(VALU_DEP_4)
	v_fmamk_f32 v210, v156, 0x3eae86e6, v205
	v_dual_add_f32 v180, v211, v212 :: v_dual_mul_f32 v7, 0x3d64c772, v9
	v_fma_f32 v8, 0x3f5ff5aa, v1, -v205
	v_add_f32_e32 v5, v5, v0
	v_fmac_f32_e32 v210, 0x3ee1c552, v204
	v_mul_f32_e32 v1, 0x3f5ff5aa, v1
	v_fma_f32 v7, 0x3f3bfb3b, v4, -v7
	v_fma_f32 v4, 0xbf3bfb3b, v4, -v159
	s_delay_alu instid0(VALU_DEP_4) | instskip(NEXT) | instid1(VALU_DEP_3)
	v_dual_sub_f32 v181, v213, v210 :: v_dual_fmac_f32 v8, 0x3ee1c552, v204
	v_add_f32_e32 v7, v7, v6
	v_fma_f32 v1, 0xbeae86e6, v156, -v1
	ds_store_2addr_b64 v184, v[206:207], v[180:181] offset0:50 offset1:113
	v_dual_mul_f32 v180, v183, v15 :: v_dual_add_f32 v207, v210, v213
	v_fmac_f32_e32 v1, 0x3ee1c552, v204
	s_delay_alu instid0(VALU_DEP_2)
	v_fma_f32 v214, v182, v14, -v180
	s_clause 0x1
	global_load_b128 v[180:183], v[234:235], off offset:1936
	global_load_b128 v[184:187], v[234:235], off offset:1952
	scratch_store_b128 off, v[12:15], off offset:484 ; 16-byte Folded Spill
	s_wait_loadcnt 0x1
	v_mul_f32_e32 v198, v201, v181
	s_wait_loadcnt 0x0
	v_mul_f32_e32 v221, v192, v185
	v_mul_f32_e32 v217, v200, v181
	;; [unrolled: 1-line block ×3, first 2 shown]
	v_fma_f32 v3, 0xbf3bfb3b, v3, -v158
	v_fma_f32 v216, v200, v180, -v198
	v_dual_mul_f32 v198, v203, v183 :: v_dual_fmac_f32 v221, v193, v184
	v_fmac_f32_e32 v217, v201, v180
	v_fmac_f32_e32 v219, v203, v182
	v_add_f32_e32 v0, v3, v0
	s_delay_alu instid0(VALU_DEP_4) | instskip(SKIP_1) | instid1(VALU_DEP_4)
	v_fma_f32 v218, v202, v182, -v198
	v_add_f32_e32 v201, v215, v221
	v_dual_add_f32 v3, v4, v6 :: v_dual_add_f32 v228, v217, v219
	v_sub_f32_e32 v2, v11, v2
	s_delay_alu instid0(VALU_DEP_4) | instskip(SKIP_1) | instid1(VALU_DEP_4)
	v_add_f32_e32 v226, v216, v218
	v_mul_f32_e32 v198, v193, v185
	v_sub_f32_e32 v203, v3, v1
	v_add_f32_e32 v205, v1, v3
	v_sub_f32_e32 v1, v219, v217
	s_delay_alu instid0(VALU_DEP_4)
	v_fma_f32 v220, v192, v184, -v198
	scratch_load_b64 v[198:199], off, off offset:4 th:TH_LOAD_LU ; 8-byte Folded Reload
	v_sub_f32_e32 v210, v214, v220
	s_wait_loadcnt 0x0
	v_mul_f32_e32 v192, v199, v187
	v_mul_f32_e32 v223, v198, v187
	v_sub_f32_e32 v206, v212, v211
	s_delay_alu instid0(VALU_DEP_3) | instskip(NEXT) | instid1(VALU_DEP_3)
	v_fma_f32 v222, v198, v186, -v192
	v_dual_mul_f32 v192, v197, v13 :: v_dual_fmac_f32 v223, v199, v186
	v_add_f32_e32 v199, v214, v220
	v_sub_f32_e32 v197, v7, v8
	s_delay_alu instid0(VALU_DEP_3) | instskip(NEXT) | instid1(VALU_DEP_4)
	v_fma_f32 v224, v196, v12, -v192
	v_add_f32_e32 v200, v225, v223
	s_delay_alu instid0(VALU_DEP_2) | instskip(NEXT) | instid1(VALU_DEP_1)
	v_add_f32_e32 v198, v224, v222
	v_add_f32_e32 v192, v199, v198
	s_delay_alu instid0(VALU_DEP_1) | instskip(NEXT) | instid1(VALU_DEP_4)
	v_add_f32_e32 v227, v226, v192
	v_add_f32_e32 v192, v201, v200
	s_delay_alu instid0(VALU_DEP_1) | instskip(SKIP_1) | instid1(VALU_DEP_2)
	v_add_f32_e32 v229, v228, v192
	v_sub_f32_e32 v3, v200, v228
	v_add_f32_e32 v193, v195, v229
	v_add_f32_e32 v195, v8, v7
	v_fma_f32 v9, 0x3f5ff5aa, v2, -v209
	v_mul_f32_e32 v2, 0x3f5ff5aa, v2
	v_dual_add_f32 v192, v194, v227 :: v_dual_sub_f32 v209, v224, v222
	v_sub_f32_e32 v217, v226, v199
	s_delay_alu instid0(VALU_DEP_4) | instskip(NEXT) | instid1(VALU_DEP_4)
	v_fmac_f32_e32 v9, 0x3ee1c552, v208
	v_fma_f32 v2, 0xbeae86e6, v157, -v2
	v_mul_f32_e32 v214, 0x3f4a47b2, v3
	s_delay_alu instid0(VALU_DEP_3) | instskip(NEXT) | instid1(VALU_DEP_3)
	v_add_f32_e32 v196, v9, v5
	v_fmac_f32_e32 v2, 0x3ee1c552, v208
	v_sub_f32_e32 v194, v5, v9
	s_delay_alu instid0(VALU_DEP_2)
	v_add_f32_e32 v202, v2, v0
	v_sub_f32_e32 v204, v0, v2
	ds_store_b64 v255, v[202:203] offset:4896
	ds_store_b64 v255, v[194:195] offset:6840
	;; [unrolled: 1-line block ×5, first 2 shown]
	v_dual_sub_f32 v203, v225, v223 :: v_dual_sub_f32 v206, v215, v221
	v_sub_f32_e32 v0, v218, v216
	v_dual_sub_f32 v2, v198, v226 :: v_dual_fmamk_f32 v205, v227, 0xbf955555, v192
	v_fmamk_f32 v207, v229, 0xbf955555, v193
	s_delay_alu instid0(VALU_DEP_4) | instskip(NEXT) | instid1(VALU_DEP_4)
	v_add_f32_e32 v5, v1, v206
	v_add_f32_e32 v4, v0, v210
	v_dual_sub_f32 v208, v1, v206 :: v_dual_sub_f32 v1, v203, v1
	v_sub_f32_e32 v212, v0, v210
	s_delay_alu instid0(VALU_DEP_3) | instskip(SKIP_1) | instid1(VALU_DEP_2)
	v_dual_sub_f32 v0, v209, v0 :: v_dual_add_f32 v219, v4, v209
	v_dual_mul_f32 v213, 0x3f4a47b2, v2 :: v_dual_sub_f32 v218, v228, v201
	v_dual_add_f32 v215, v5, v203 :: v_dual_mul_f32 v216, 0x3eae86e6, v0
	v_mul_f32_e32 v211, 0x3eae86e6, v1
	s_delay_alu instid0(VALU_DEP_3) | instskip(NEXT) | instid1(VALU_DEP_2)
	v_fmamk_f32 v0, v217, 0x3d64c772, v213
	v_fmamk_f32 v202, v208, 0xbf08b237, v211
	s_delay_alu instid0(VALU_DEP_2) | instskip(SKIP_1) | instid1(VALU_DEP_3)
	v_add_f32_e32 v194, v0, v205
	v_fmamk_f32 v0, v218, 0x3d64c772, v214
	v_fmac_f32_e32 v202, 0x3ee1c552, v215
	s_delay_alu instid0(VALU_DEP_2) | instskip(SKIP_1) | instid1(VALU_DEP_3)
	v_add_f32_e32 v195, v0, v207
	v_fmamk_f32 v204, v212, 0xbf08b237, v216
	v_sub_f32_e32 v0, v194, v202
	s_delay_alu instid0(VALU_DEP_2) | instskip(NEXT) | instid1(VALU_DEP_1)
	v_fmac_f32_e32 v204, 0x3ee1c552, v219
	v_add_f32_e32 v1, v204, v195
	scratch_store_b64 off, v[0:1], off offset:4 ; 8-byte Folded Spill
	s_and_saveexec_b32 s0, vcc_lo
	s_cbranch_execz .LBB0_5
; %bb.4:
	v_dual_mul_f32 v2, 0x3ee1c552, v219 :: v_dual_sub_f32 v3, v210, v209
	v_dual_sub_f32 v4, v201, v200 :: v_dual_sub_f32 v5, v199, v198
	v_dual_mul_f32 v0, 0x3d64c772, v217 :: v_dual_mul_f32 v1, 0x3d64c772, v218
	s_delay_alu instid0(VALU_DEP_3) | instskip(NEXT) | instid1(VALU_DEP_3)
	v_fma_f32 v8, 0xbf5ff5aa, v3, -v216
	v_fma_f32 v9, 0xbf3bfb3b, v4, -v214
	s_delay_alu instid0(VALU_DEP_4) | instskip(SKIP_2) | instid1(VALU_DEP_4)
	v_fma_f32 v10, 0xbf3bfb3b, v5, -v213
	v_mul_f32_e32 v7, 0xbf08b237, v212
	v_dual_sub_f32 v11, v206, v203 :: v_dual_mul_f32 v156, 0xbf08b237, v208
	v_dual_add_f32 v8, v2, v8 :: v_dual_add_f32 v9, v9, v207
	v_mul_f32_e32 v6, 0x3ee1c552, v215
	v_add_f32_e32 v10, v10, v205
	s_delay_alu instid0(VALU_DEP_4)
	v_fma_f32 v157, 0xbf5ff5aa, v11, -v211
	v_fma_f32 v1, 0x3f3bfb3b, v4, -v1
	v_add_f32_e32 v197, v8, v9
	v_fma_f32 v3, 0x3f5ff5aa, v3, -v7
	v_fma_f32 v4, 0x3f5ff5aa, v11, -v156
	;; [unrolled: 1-line block ×3, first 2 shown]
	v_add_f32_e32 v1, v1, v207
	v_dual_sub_f32 v195, v195, v204 :: v_dual_add_f32 v194, v202, v194
	v_add_f32_e32 v2, v2, v3
	s_delay_alu instid0(VALU_DEP_4) | instskip(SKIP_1) | instid1(VALU_DEP_2)
	v_dual_add_f32 v3, v6, v4 :: v_dual_add_f32 v0, v0, v205
	v_dual_add_f32 v5, v6, v157 :: v_dual_sub_f32 v206, v9, v8
	v_add_f32_e32 v198, v3, v0
	s_delay_alu instid0(VALU_DEP_2)
	v_dual_sub_f32 v200, v0, v3 :: v_dual_add_f32 v205, v5, v10
	v_dual_add_f32 v201, v2, v1 :: v_dual_add_nc_u32 v0, 0x5c0, v255
	v_dual_sub_f32 v196, v10, v5 :: v_dual_sub_f32 v199, v1, v2
	v_add_nc_u32_e32 v1, 0x1500, v255
	v_add_nc_u32_e32 v2, 0x2400, v255
	ds_store_2addr_b64 v0, v[192:193], v[194:195] offset0:5 offset1:248
	ds_store_2addr_b64 v1, v[205:206], v[200:201] offset0:3 offset1:246
	;; [unrolled: 1-line block ×3, first 2 shown]
	scratch_load_b64 v[0:1], off, off offset:4 ; 8-byte Folded Reload
	s_wait_loadcnt 0x0
	ds_store_b64 v255, v[0:1] offset:13176
.LBB0_5:
	s_wait_alu 0xfffe
	s_or_b32 exec_lo, exec_lo, s0
	global_wb scope:SCOPE_SE
	s_wait_storecnt_dscnt 0x0
	s_barrier_signal -1
	s_barrier_wait -1
	global_inv scope:SCOPE_SE
	scratch_load_b64 v[0:1], off, off offset:476 th:TH_LOAD_LU ; 8-byte Folded Reload
	ds_load_2addr_b64 v[192:195], v255 offset1:63
	s_add_nc_u64 s[0:1], s[8:9], 0x3528
	v_add_nc_u32_e32 v254, 0x1400, v255
	s_wait_loadcnt 0x0
	global_load_b64 v[196:197], v[0:1], off offset:13608
	s_wait_loadcnt_dscnt 0x0
	v_mul_f32_e32 v0, v193, v197
	s_delay_alu instid0(VALU_DEP_1) | instskip(SKIP_3) | instid1(VALU_DEP_1)
	v_fma_f32 v198, v192, v196, -v0
	scratch_load_b32 v0, off, off           ; 4-byte Folded Reload
	s_wait_loadcnt 0x0
	v_dual_mul_f32 v199, v192, v197 :: v_dual_lshlrev_b32 v0, 3, v0
	v_fmac_f32_e32 v199, v193, v196
	s_clause 0x3
	global_load_b64 v[192:193], v0, s[0:1] offset:504
	global_load_b64 v[196:197], v0, s[0:1] offset:1008
	;; [unrolled: 1-line block ×4, first 2 shown]
	ds_store_b64 v255, v[198:199]
	s_clause 0x3
	global_load_b64 v[200:201], v0, s[0:1] offset:9072
	global_load_b64 v[208:209], v0, s[0:1] offset:9576
	;; [unrolled: 1-line block ×4, first 2 shown]
	v_add_nc_u32_e32 v199, 0x2000, v255
	s_wait_loadcnt 0x7
	v_dual_mul_f32 v1, v195, v193 :: v_dual_add_nc_u32 v198, 0x800, v255
	v_mul_f32_e32 v207, v194, v193
	s_delay_alu instid0(VALU_DEP_2) | instskip(NEXT) | instid1(VALU_DEP_2)
	v_fma_f32 v206, v194, v192, -v1
	v_fmac_f32_e32 v207, v195, v192
	ds_load_2addr_b64 v[192:195], v199 offset0:110 offset1:173
	s_wait_loadcnt_dscnt 0x300
	v_mul_f32_e32 v1, v193, v201
	s_wait_loadcnt 0x2
	v_mul_f32_e32 v217, v194, v209
	v_mul_f32_e32 v215, v192, v201
	v_add_nc_u32_e32 v201, 0x1000, v255
	v_fma_f32 v214, v192, v200, -v1
	v_mul_f32_e32 v1, v195, v209
	v_fmac_f32_e32 v217, v195, v208
	v_dual_fmac_f32 v215, v193, v200 :: v_dual_add_nc_u32 v200, 0x2400, v255
	s_delay_alu instid0(VALU_DEP_3)
	v_fma_f32 v216, v194, v208, -v1
	s_clause 0x3
	global_load_b64 v[208:209], v0, s[0:1] offset:5040
	global_load_b64 v[218:219], v0, s[0:1] offset:5544
	global_load_b64 v[220:221], v0, s[0:1] offset:6048
	global_load_b64 v[222:223], v0, s[0:1] offset:4536
	ds_load_2addr_b64 v[192:195], v201 offset0:118 offset1:181
	s_wait_loadcnt_dscnt 0x300
	v_mul_f32_e32 v1, v193, v209
	v_mul_f32_e32 v225, v192, v209
	s_wait_loadcnt 0x2
	v_mul_f32_e32 v227, v194, v219
	s_delay_alu instid0(VALU_DEP_3) | instskip(SKIP_2) | instid1(VALU_DEP_4)
	v_fma_f32 v224, v192, v208, -v1
	v_mul_f32_e32 v1, v195, v219
	v_fmac_f32_e32 v225, v193, v208
	v_fmac_f32_e32 v227, v195, v218
	s_delay_alu instid0(VALU_DEP_3)
	v_fma_f32 v226, v194, v218, -v1
	ds_load_2addr_b64 v[192:195], v255 offset0:126 offset1:189
	s_wait_dscnt 0x0
	v_mul_f32_e32 v1, v193, v197
	v_mul_f32_e32 v219, v192, v197
	v_mul_f32_e32 v197, v194, v203
	s_delay_alu instid0(VALU_DEP_3) | instskip(SKIP_1) | instid1(VALU_DEP_4)
	v_fma_f32 v218, v192, v196, -v1
	v_mul_f32_e32 v1, v195, v203
	v_fmac_f32_e32 v219, v193, v196
	s_delay_alu instid0(VALU_DEP_4) | instskip(SKIP_1) | instid1(VALU_DEP_4)
	v_fmac_f32_e32 v197, v195, v202
	v_add_nc_u32_e32 v203, 0x1800, v255
	v_fma_f32 v196, v194, v202, -v1
	ds_load_2addr_b64 v[192:195], v200 offset0:108 offset1:171
	v_add_nc_u32_e32 v202, 0x2800, v255
	s_wait_dscnt 0x0
	v_mul_f32_e32 v1, v193, v211
	v_mul_f32_e32 v229, v192, v211
	s_delay_alu instid0(VALU_DEP_2) | instskip(NEXT) | instid1(VALU_DEP_2)
	v_fma_f32 v228, v192, v210, -v1
	v_fmac_f32_e32 v229, v193, v210
	s_clause 0x3
	global_load_b64 v[192:193], v0, s[0:1] offset:10584
	global_load_b64 v[208:209], v0, s[0:1] offset:11088
	;; [unrolled: 1-line block ×4, first 2 shown]
	s_wait_loadcnt 0x3
	v_mul_f32_e32 v1, v195, v193
	v_mul_f32_e32 v233, v194, v193
	s_delay_alu instid0(VALU_DEP_2) | instskip(NEXT) | instid1(VALU_DEP_2)
	v_fma_f32 v232, v194, v192, -v1
	v_fmac_f32_e32 v233, v195, v192
	ds_load_2addr_b64 v[192:195], v254 offset0:116 offset1:179
	s_wait_dscnt 0x0
	v_mul_f32_e32 v1, v193, v221
	v_mul_f32_e32 v235, v192, v221
	s_delay_alu instid0(VALU_DEP_2) | instskip(NEXT) | instid1(VALU_DEP_2)
	v_fma_f32 v234, v192, v220, -v1
	v_fmac_f32_e32 v235, v193, v220
	s_clause 0x3
	global_load_b64 v[192:193], v0, s[0:1] offset:6552
	global_load_b64 v[220:221], v0, s[0:1] offset:7056
	;; [unrolled: 1-line block ×4, first 2 shown]
	s_wait_loadcnt 0x3
	v_mul_f32_e32 v1, v195, v193
	v_mul_f32_e32 v245, v194, v193
	s_delay_alu instid0(VALU_DEP_2) | instskip(SKIP_1) | instid1(VALU_DEP_3)
	v_fma_f32 v244, v194, v192, -v1
	v_add_nc_u32_e32 v1, 0x400, v255
	v_fmac_f32_e32 v245, v195, v192
	ds_load_2addr_b64 v[192:195], v1 offset0:124 offset1:187
	v_mov_b32_e32 v3, v1
	s_wait_dscnt 0x0
	v_mul_f32_e32 v1, v193, v205
	v_mul_f32_e32 v247, v192, v205
	s_delay_alu instid0(VALU_DEP_2) | instskip(NEXT) | instid1(VALU_DEP_2)
	v_fma_f32 v246, v192, v204, -v1
	v_fmac_f32_e32 v247, v193, v204
	s_clause 0x3
	global_load_b64 v[192:193], v0, s[0:1] offset:2520
	global_load_b64 v[204:205], v0, s[0:1] offset:3024
	;; [unrolled: 1-line block ×4, first 2 shown]
	s_wait_loadcnt 0x3
	v_mul_f32_e32 v1, v195, v193
	v_mul_f32_e32 v251, v194, v193
	s_delay_alu instid0(VALU_DEP_2) | instskip(NEXT) | instid1(VALU_DEP_2)
	v_fma_f32 v250, v194, v192, -v1
	v_fmac_f32_e32 v251, v195, v192
	ds_load_2addr_b64 v[192:195], v202 offset0:106 offset1:169
	s_wait_dscnt 0x0
	v_mul_f32_e32 v1, v193, v209
	v_mul_f32_e32 v243, v192, v209
	;; [unrolled: 1-line block ×3, first 2 shown]
	s_delay_alu instid0(VALU_DEP_3) | instskip(SKIP_1) | instid1(VALU_DEP_4)
	v_fma_f32 v242, v192, v208, -v1
	v_mul_f32_e32 v1, v195, v211
	v_fmac_f32_e32 v243, v193, v208
	s_delay_alu instid0(VALU_DEP_4) | instskip(NEXT) | instid1(VALU_DEP_3)
	v_dual_fmac_f32 v253, v195, v210 :: v_dual_add_nc_u32 v208, 0x2c00, v255
	v_fma_f32 v252, v194, v210, -v1
	ds_load_2addr_b64 v[192:195], v203 offset0:114 offset1:177
	s_wait_dscnt 0x0
	v_mul_f32_e32 v1, v193, v221
	v_mul_f32_e32 v210, v192, v221
	;; [unrolled: 1-line block ×3, first 2 shown]
	s_delay_alu instid0(VALU_DEP_3) | instskip(NEXT) | instid1(VALU_DEP_3)
	v_fma_f32 v209, v192, v220, -v1
	v_dual_mul_f32 v1, v195, v237 :: v_dual_fmac_f32 v210, v193, v220
	s_delay_alu instid0(VALU_DEP_3) | instskip(NEXT) | instid1(VALU_DEP_2)
	v_fmac_f32_e32 v221, v195, v236
	v_fma_f32 v220, v194, v236, -v1
	ds_load_2addr_b64 v[192:195], v198 offset0:122 offset1:185
	s_wait_loadcnt_dscnt 0x200
	v_mul_f32_e32 v1, v193, v205
	v_mul_f32_e32 v237, v192, v205
	s_wait_loadcnt 0x1
	v_mul_f32_e32 v205, v194, v241
	s_delay_alu instid0(VALU_DEP_3) | instskip(SKIP_2) | instid1(VALU_DEP_4)
	v_fma_f32 v236, v192, v204, -v1
	v_mul_f32_e32 v1, v195, v241
	v_fmac_f32_e32 v237, v193, v204
	v_fmac_f32_e32 v205, v195, v240
	s_delay_alu instid0(VALU_DEP_3) | instskip(SKIP_4) | instid1(VALU_DEP_2)
	v_fma_f32 v204, v194, v240, -v1
	ds_load_2addr_b64 v[192:195], v208 offset0:104 offset1:167
	s_wait_dscnt 0x0
	v_mul_f32_e32 v1, v193, v231
	v_mul_f32_e32 v157, v192, v231
	v_fma_f32 v156, v192, v230, -v1
	s_delay_alu instid0(VALU_DEP_2)
	v_fmac_f32_e32 v157, v193, v230
	s_clause 0x1
	global_load_b64 v[158:159], v0, s[0:1] offset:12600
	global_load_b64 v[230:231], v0, s[0:1] offset:13104
	s_wait_loadcnt 0x1
	v_mul_f32_e32 v0, v195, v159
	v_mul_f32_e32 v241, v194, v159
	s_delay_alu instid0(VALU_DEP_2) | instskip(NEXT) | instid1(VALU_DEP_2)
	v_fma_f32 v240, v194, v158, -v0
	v_dual_fmac_f32 v241, v195, v158 :: v_dual_add_nc_u32 v0, 0xc00, v255
	ds_load_2addr_b64 v[192:195], v0 offset0:120 offset1:183
	s_wait_dscnt 0x0
	v_dual_mov_b32 v1, v0 :: v_dual_mul_f32 v0, v195, v223
	v_mul_f32_e32 v159, v194, v223
	v_mul_f32_e32 v223, v192, v249
	s_delay_alu instid0(VALU_DEP_3) | instskip(NEXT) | instid1(VALU_DEP_3)
	v_fma_f32 v158, v194, v222, -v0
	v_dual_mul_f32 v0, v193, v249 :: v_dual_fmac_f32 v159, v195, v222
	s_delay_alu instid0(VALU_DEP_3) | instskip(NEXT) | instid1(VALU_DEP_2)
	v_fmac_f32_e32 v223, v193, v248
	v_fma_f32 v222, v192, v248, -v0
	v_add_nc_u32_e32 v0, 0x1c00, v255
	ds_load_2addr_b64 v[192:195], v0 offset0:112 offset1:175
	v_mov_b32_e32 v2, v0
	s_wait_dscnt 0x0
	v_mul_f32_e32 v0, v193, v239
	v_mul_f32_e32 v249, v192, v239
	s_delay_alu instid0(VALU_DEP_2) | instskip(NEXT) | instid1(VALU_DEP_2)
	v_fma_f32 v248, v192, v238, -v0
	v_dual_fmac_f32 v249, v193, v238 :: v_dual_mul_f32 v0, v195, v213
	v_mul_f32_e32 v193, v194, v213
	s_delay_alu instid0(VALU_DEP_2) | instskip(NEXT) | instid1(VALU_DEP_2)
	v_fma_f32 v192, v194, v212, -v0
	v_fmac_f32_e32 v193, v195, v212
	ds_load_b64 v[194:195], v255 offset:13104
	s_wait_loadcnt_dscnt 0x0
	v_mul_f32_e32 v0, v195, v231
	v_mul_f32_e32 v212, v194, v231
	s_delay_alu instid0(VALU_DEP_2) | instskip(NEXT) | instid1(VALU_DEP_2)
	v_fma_f32 v211, v194, v230, -v0
	v_fmac_f32_e32 v212, v195, v230
	v_add_nc_u32_e32 v0, 0x3000, v255
	ds_store_2addr_b64 v0, v[240:241], v[211:212] offset0:39 offset1:102
	ds_store_2addr_b64 v201, v[158:159], v[224:225] offset0:55 offset1:118
	;; [unrolled: 1-line block ×13, first 2 shown]
	global_wb scope:SCOPE_SE
	s_wait_dscnt 0x0
	s_barrier_signal -1
	s_barrier_wait -1
	global_inv scope:SCOPE_SE
	ds_load_2addr_b64 v[192:195], v1 offset0:120 offset1:183
	ds_load_2addr_b64 v[209:212], v199 offset0:110 offset1:173
	ds_load_2addr_b64 v[213:216], v255 offset1:63
	v_dual_mov_b32 v242, v1 :: v_dual_mov_b32 v241, v2
	s_wait_dscnt 0x1
	v_dual_add_f32 v0, v194, v209 :: v_dual_add_f32 v1, v195, v210
	s_wait_dscnt 0x0
	s_delay_alu instid0(VALU_DEP_1) | instskip(SKIP_1) | instid1(VALU_DEP_3)
	v_fma_f32 v156, -0.5, v0, v213
	v_add_f32_e32 v0, v213, v194
	v_fma_f32 v157, -0.5, v1, v214
	s_delay_alu instid0(VALU_DEP_2) | instskip(SKIP_1) | instid1(VALU_DEP_2)
	v_dual_add_f32 v1, v214, v195 :: v_dual_add_f32 v158, v0, v209
	v_sub_f32_e32 v0, v195, v210
	v_add_f32_e32 v159, v1, v210
	s_delay_alu instid0(VALU_DEP_2)
	v_fmamk_f32 v213, v0, 0xbf5db3d7, v156
	v_fmac_f32_e32 v156, 0x3f5db3d7, v0
	v_sub_f32_e32 v0, v194, v209
	ds_load_b64 v[209:210], v255 offset:13104
	ds_load_2addr_b64 v[217:220], v201 offset0:118 offset1:181
	ds_load_2addr_b64 v[221:224], v255 offset0:126 offset1:189
	;; [unrolled: 1-line block ×10, first 2 shown]
	global_wb scope:SCOPE_SE
	s_wait_dscnt 0x0
	s_barrier_signal -1
	s_barrier_wait -1
	global_inv scope:SCOPE_SE
	scratch_load_b32 v4, off, off offset:236 th:TH_LOAD_LU ; 4-byte Folded Reload
	v_fmamk_f32 v214, v0, 0x3f5db3d7, v157
	v_dual_fmac_f32 v157, 0xbf5db3d7, v0 :: v_dual_add_f32 v0, v215, v217
	v_dual_add_f32 v1, v216, v218 :: v_dual_add_f32 v2, v218, v212
	s_delay_alu instid0(VALU_DEP_1)
	v_dual_sub_f32 v5, v219, v225 :: v_dual_fmac_f32 v216, -0.5, v2
	v_add_f32_e32 v2, v220, v226
	s_wait_loadcnt 0x0
	ds_store_2addr_b64 v4, v[158:159], v[213:214] offset1:1
	ds_store_b64 v4, v[156:157] offset:16
	v_add_f32_e32 v158, v0, v211
	v_add_f32_e32 v0, v217, v211
	;; [unrolled: 1-line block ×3, first 2 shown]
	v_sub_f32_e32 v1, v218, v212
	v_dual_add_f32 v4, v222, v220 :: v_dual_mov_b32 v243, v3
	s_delay_alu instid0(VALU_DEP_4) | instskip(SKIP_4) | instid1(VALU_DEP_3)
	v_fma_f32 v215, -0.5, v0, v215
	scratch_load_b32 v0, off, off offset:472 th:TH_LOAD_LU ; 4-byte Folded Reload
	v_sub_f32_e32 v3, v217, v211
	v_fmamk_f32 v156, v1, 0xbf5db3d7, v215
	v_fmac_f32_e32 v215, 0x3f5db3d7, v1
	v_fmamk_f32 v157, v3, 0x3f5db3d7, v216
	v_dual_fmac_f32 v216, 0xbf5db3d7, v3 :: v_dual_add_f32 v1, v219, v225
	v_sub_f32_e32 v3, v220, v226
	s_wait_loadcnt 0x0
	ds_store_2addr_b64 v0, v[158:159], v[156:157] offset1:1
	ds_store_b64 v0, v[215:216] offset:16
	v_add_f32_e32 v159, v4, v226
	scratch_load_b32 v4, off, off offset:464 th:TH_LOAD_LU ; 4-byte Folded Reload
	v_add_f32_e32 v0, v221, v219
	v_fma_f32 v156, -0.5, v1, v221
	v_fma_f32 v157, -0.5, v2, v222
	v_dual_add_f32 v1, v224, v230 :: v_dual_add_f32 v2, v230, v228
	s_delay_alu instid0(VALU_DEP_3) | instskip(NEXT) | instid1(VALU_DEP_3)
	v_dual_add_f32 v158, v0, v225 :: v_dual_fmamk_f32 v211, v3, 0xbf5db3d7, v156
	v_fmamk_f32 v212, v5, 0x3f5db3d7, v157
	v_add_f32_e32 v0, v223, v229
	v_fmac_f32_e32 v156, 0x3f5db3d7, v3
	v_fmac_f32_e32 v157, 0xbf5db3d7, v5
	v_dual_sub_f32 v3, v229, v227 :: v_dual_fmac_f32 v224, -0.5, v2
	v_dual_add_f32 v2, v232, v249 :: v_dual_sub_f32 v5, v231, v248
	s_wait_loadcnt 0x0
	ds_store_2addr_b64 v4, v[158:159], v[211:212] offset1:1
	ds_store_b64 v4, v[156:157] offset:16
	v_add_f32_e32 v158, v0, v227
	v_add_f32_e32 v0, v229, v227
	;; [unrolled: 1-line block ×3, first 2 shown]
	v_sub_f32_e32 v1, v230, v228
	v_fmamk_f32 v157, v3, 0x3f5db3d7, v224
	v_fmac_f32_e32 v224, 0xbf5db3d7, v3
	v_fma_f32 v223, -0.5, v0, v223
	scratch_load_b32 v0, off, off offset:468 th:TH_LOAD_LU ; 4-byte Folded Reload
	v_dual_sub_f32 v4, v232, v249 :: v_dual_add_f32 v3, v245, v232
	v_fmamk_f32 v156, v1, 0xbf5db3d7, v223
	v_fmac_f32_e32 v223, 0x3f5db3d7, v1
	v_add_f32_e32 v1, v231, v248
	s_wait_loadcnt 0x0
	ds_store_2addr_b64 v0, v[158:159], v[156:157] offset1:1
	ds_store_b64 v0, v[223:224] offset:16
	v_fma_f32 v156, -0.5, v1, v244
	v_add_f32_e32 v0, v244, v231
	v_fma_f32 v157, -0.5, v2, v245
	v_add_f32_e32 v159, v3, v249
	v_add_f32_e32 v1, v247, v234
	v_fmamk_f32 v211, v4, 0xbf5db3d7, v156
	v_fmac_f32_e32 v156, 0x3f5db3d7, v4
	scratch_load_b32 v4, off, off offset:456 th:TH_LOAD_LU ; 4-byte Folded Reload
	v_add_f32_e32 v158, v0, v248
	v_fmamk_f32 v212, v5, 0x3f5db3d7, v157
	v_add_f32_e32 v0, v246, v233
	v_dual_fmac_f32 v157, 0xbf5db3d7, v5 :: v_dual_add_f32 v2, v234, v251
	v_sub_f32_e32 v3, v233, v250
	v_sub_f32_e32 v5, v235, v204
	s_delay_alu instid0(VALU_DEP_3)
	v_dual_fmac_f32 v247, -0.5, v2 :: v_dual_add_f32 v2, v236, v205
	s_wait_loadcnt 0x0
	ds_store_2addr_b64 v4, v[158:159], v[211:212] offset1:1
	ds_store_b64 v4, v[156:157] offset:16
	v_add_f32_e32 v158, v0, v250
	v_add_f32_e32 v0, v233, v250
	;; [unrolled: 1-line block ×3, first 2 shown]
	v_sub_f32_e32 v1, v234, v251
	v_fmamk_f32 v157, v3, 0x3f5db3d7, v247
	v_fmac_f32_e32 v247, 0xbf5db3d7, v3
	v_fma_f32 v246, -0.5, v0, v246
	scratch_load_b32 v0, off, off offset:460 th:TH_LOAD_LU ; 4-byte Folded Reload
	v_dual_sub_f32 v4, v236, v205 :: v_dual_add_f32 v3, v238, v236
	v_fmamk_f32 v156, v1, 0xbf5db3d7, v246
	v_dual_fmac_f32 v246, 0x3f5db3d7, v1 :: v_dual_add_f32 v1, v235, v204
	s_wait_loadcnt 0x0
	ds_store_2addr_b64 v0, v[158:159], v[156:157] offset1:1
	ds_store_b64 v0, v[246:247] offset:16
	v_add_f32_e32 v0, v237, v235
	v_fma_f32 v156, -0.5, v1, v237
	v_fma_f32 v157, -0.5, v2, v238
	v_add_f32_e32 v159, v3, v205
	v_add_f32_e32 v1, v240, v195
	;; [unrolled: 1-line block ×3, first 2 shown]
	v_fmamk_f32 v204, v4, 0xbf5db3d7, v156
	v_fmac_f32_e32 v156, 0x3f5db3d7, v4
	scratch_load_b32 v4, off, off offset:448 th:TH_LOAD_LU ; 4-byte Folded Reload
	v_dual_fmamk_f32 v205, v5, 0x3f5db3d7, v157 :: v_dual_add_f32 v0, v239, v194
	v_dual_fmac_f32 v157, 0xbf5db3d7, v5 :: v_dual_add_f32 v2, v195, v207
	v_sub_f32_e32 v3, v194, v206
	s_delay_alu instid0(VALU_DEP_2)
	v_dual_sub_f32 v5, v196, v209 :: v_dual_fmac_f32 v240, -0.5, v2
	v_add_f32_e32 v2, v193, v197
	s_wait_loadcnt 0x0
	ds_store_2addr_b64 v4, v[158:159], v[204:205] offset1:1
	ds_store_b64 v4, v[156:157] offset:16
	v_add_f32_e32 v158, v0, v206
	v_dual_add_f32 v0, v194, v206 :: v_dual_add_f32 v159, v1, v207
	v_sub_f32_e32 v1, v195, v207
	v_fmamk_f32 v157, v3, 0x3f5db3d7, v240
	v_fmac_f32_e32 v240, 0xbf5db3d7, v3
	s_delay_alu instid0(VALU_DEP_4)
	v_fma_f32 v239, -0.5, v0, v239
	scratch_load_b32 v0, off, off offset:452 th:TH_LOAD_LU ; 4-byte Folded Reload
	v_add_f32_e32 v4, v197, v210
	v_sub_f32_e32 v3, v197, v210
	v_fmamk_f32 v156, v1, 0xbf5db3d7, v239
	v_fmac_f32_e32 v239, 0x3f5db3d7, v1
	v_add_f32_e32 v1, v196, v209
	v_fmac_f32_e32 v193, -0.5, v4
	s_wait_loadcnt 0x0
	ds_store_2addr_b64 v0, v[158:159], v[156:157] offset1:1
	ds_store_b64 v0, v[239:240] offset:16
	v_add_f32_e32 v0, v192, v196
	v_fma_f32 v192, -0.5, v1, v192
	v_add_f32_e32 v157, v2, v210
	v_fmamk_f32 v159, v5, 0x3f5db3d7, v193
	v_fmac_f32_e32 v193, 0xbf5db3d7, v5
	v_add_f32_e32 v156, v0, v209
	scratch_load_b32 v0, off, off offset:444 th:TH_LOAD_LU ; 4-byte Folded Reload
	v_fmamk_f32 v158, v3, 0xbf5db3d7, v192
	v_fmac_f32_e32 v192, 0x3f5db3d7, v3
	s_wait_loadcnt 0x0
	ds_store_2addr_b64 v0, v[156:157], v[158:159] offset1:1
	ds_store_b64 v0, v[192:193] offset:16
	global_wb scope:SCOPE_SE
	s_wait_dscnt 0x0
	s_barrier_signal -1
	s_barrier_wait -1
	global_inv scope:SCOPE_SE
	ds_load_b64 v[156:157], v255 offset:13104
	s_wait_dscnt 0x0
	v_mul_f32_e32 v0, v179, v156
	ds_load_2addr_b64 v[193:196], v241 offset0:112 offset1:175
	v_mul_f32_e32 v192, v179, v157
	v_fma_f32 v0, v178, v157, -v0
	s_delay_alu instid0(VALU_DEP_2) | instskip(SKIP_4) | instid1(VALU_DEP_3)
	v_fmac_f32_e32 v192, v178, v156
	s_wait_dscnt 0x0
	v_mul_f32_e32 v1, v177, v196
	v_mul_f32_e32 v2, v177, v195
	;; [unrolled: 1-line block ×3, first 2 shown]
	v_dual_mul_f32 v4, v173, v193 :: v_dual_fmac_f32 v1, v176, v195
	s_delay_alu instid0(VALU_DEP_3)
	v_fma_f32 v2, v176, v196, -v2
	ds_load_2addr_b64 v[176:179], v208 offset0:104 offset1:167
	v_fmac_f32_e32 v3, v172, v193
	v_fma_f32 v4, v172, v194, -v4
	s_wait_dscnt 0x0
	v_mul_f32_e32 v8, v171, v176
	v_mul_f32_e32 v6, v175, v178
	;; [unrolled: 1-line block ×3, first 2 shown]
	s_delay_alu instid0(VALU_DEP_3) | instskip(SKIP_1) | instid1(VALU_DEP_4)
	v_fma_f32 v8, v170, v177, -v8
	v_mul_f32_e32 v7, v171, v177
	v_fma_f32 v6, v174, v179, -v6
	s_delay_alu instid0(VALU_DEP_2)
	v_fmac_f32_e32 v7, v170, v176
	ds_load_2addr_b64 v[170:173], v203 offset0:114 offset1:177
	s_wait_dscnt 0x0
	v_mul_f32_e32 v9, v169, v173
	v_mul_f32_e32 v10, v169, v172
	;; [unrolled: 1-line block ×3, first 2 shown]
	s_delay_alu instid0(VALU_DEP_3) | instskip(NEXT) | instid1(VALU_DEP_3)
	v_dual_mul_f32 v156, v165, v170 :: v_dual_fmac_f32 v9, v168, v172
	v_fma_f32 v10, v168, v173, -v10
	s_delay_alu instid0(VALU_DEP_3) | instskip(NEXT) | instid1(VALU_DEP_3)
	v_fmac_f32_e32 v11, v164, v170
	v_fma_f32 v158, v164, v171, -v156
	ds_load_2addr_b64 v[168:171], v202 offset0:106 offset1:169
	v_fmac_f32_e32 v5, v174, v178
	s_wait_dscnt 0x0
	v_mul_f32_e32 v159, v167, v171
	v_mul_f32_e32 v156, v167, v170
	;; [unrolled: 1-line block ×3, first 2 shown]
	s_delay_alu instid0(VALU_DEP_3) | instskip(NEXT) | instid1(VALU_DEP_3)
	v_fmac_f32_e32 v159, v166, v170
	v_fma_f32 v166, v166, v171, -v156
	v_mul_f32_e32 v156, v163, v168
	s_delay_alu instid0(VALU_DEP_4) | instskip(NEXT) | instid1(VALU_DEP_2)
	v_fmac_f32_e32 v167, v162, v168
	v_fma_f32 v168, v162, v169, -v156
	ds_load_2addr_b64 v[162:165], v254 offset0:116 offset1:179
	s_wait_dscnt 0x0
	v_mul_f32_e32 v169, v161, v165
	v_mul_f32_e32 v156, v161, v164
	s_delay_alu instid0(VALU_DEP_2) | instskip(NEXT) | instid1(VALU_DEP_2)
	v_fmac_f32_e32 v169, v160, v164
	v_fma_f32 v164, v160, v165, -v156
	v_mul_f32_e32 v165, v153, v163
	v_mul_f32_e32 v153, v153, v162
	s_delay_alu instid0(VALU_DEP_2) | instskip(NEXT) | instid1(VALU_DEP_2)
	v_fmac_f32_e32 v165, v152, v162
	v_fma_f32 v170, v152, v163, -v153
	ds_load_2addr_b64 v[160:163], v200 offset0:108 offset1:171
	s_wait_dscnt 0x0
	v_mul_f32_e32 v152, v155, v162
	v_mul_f32_e32 v173, v151, v161
	;; [unrolled: 1-line block ×4, first 2 shown]
	s_delay_alu instid0(VALU_DEP_4) | instskip(NEXT) | instid1(VALU_DEP_4)
	v_fma_f32 v172, v154, v163, -v152
	v_fmac_f32_e32 v173, v150, v160
	s_delay_alu instid0(VALU_DEP_4)
	v_fma_f32 v174, v150, v161, -v151
	ds_load_2addr_b64 v[150:153], v201 offset0:118 offset1:181
	v_fmac_f32_e32 v171, v154, v162
	s_wait_dscnt 0x0
	v_mul_f32_e32 v175, v149, v153
	v_mul_f32_e32 v149, v149, v152
	v_mul_f32_e32 v177, v145, v151
	v_mul_f32_e32 v145, v145, v150
	s_delay_alu instid0(VALU_DEP_4) | instskip(NEXT) | instid1(VALU_DEP_4)
	v_fmac_f32_e32 v175, v148, v152
	v_fma_f32 v176, v148, v153, -v149
	s_delay_alu instid0(VALU_DEP_4) | instskip(NEXT) | instid1(VALU_DEP_4)
	v_fmac_f32_e32 v177, v144, v150
	v_fma_f32 v178, v144, v151, -v145
	ds_load_2addr_b64 v[148:151], v199 offset0:110 offset1:173
	s_wait_dscnt 0x0
	v_mul_f32_e32 v179, v147, v151
	v_mul_f32_e32 v144, v147, v150
	s_delay_alu instid0(VALU_DEP_2) | instskip(SKIP_1) | instid1(VALU_DEP_3)
	v_dual_fmac_f32 v179, v146, v150 :: v_dual_mul_f32 v150, v143, v149
	v_mul_f32_e32 v143, v143, v148
	v_fma_f32 v193, v146, v151, -v144
	s_delay_alu instid0(VALU_DEP_3) | instskip(NEXT) | instid1(VALU_DEP_3)
	v_fmac_f32_e32 v150, v142, v148
	v_fma_f32 v148, v142, v149, -v143
	ds_load_2addr_b64 v[142:145], v242 offset0:120 offset1:183
	s_wait_dscnt 0x0
	v_mul_f32_e32 v149, v141, v145
	v_mul_f32_e32 v141, v141, v144
	s_delay_alu instid0(VALU_DEP_2) | instskip(NEXT) | instid1(VALU_DEP_2)
	v_fmac_f32_e32 v149, v140, v144
	v_fma_f32 v140, v140, v145, -v141
	ds_load_2addr_b64 v[144:147], v255 offset1:63
	v_sub_f32_e32 v195, v149, v150
	v_add_f32_e32 v151, v140, v148
	v_sub_f32_e32 v194, v140, v148
	s_wait_dscnt 0x0
	v_dual_add_f32 v141, v145, v140 :: v_dual_add_f32 v140, v144, v149
	s_delay_alu instid0(VALU_DEP_3) | instskip(NEXT) | instid1(VALU_DEP_2)
	v_fma_f32 v145, -0.5, v151, v145
	v_add_f32_e32 v141, v141, v148
	v_add_f32_e32 v148, v149, v150
	s_delay_alu instid0(VALU_DEP_3) | instskip(SKIP_1) | instid1(VALU_DEP_3)
	v_dual_add_f32 v140, v140, v150 :: v_dual_fmamk_f32 v157, v195, 0x3f5db3d7, v145
	v_fmac_f32_e32 v145, 0xbf5db3d7, v195
	v_fma_f32 v144, -0.5, v148, v144
	ds_load_2addr_b64 v[148:151], v255 offset0:126 offset1:189
	ds_load_2addr_b64 v[152:155], v243 offset0:124 offset1:187
	;; [unrolled: 1-line block ×3, first 2 shown]
	global_wb scope:SCOPE_SE
	s_wait_dscnt 0x0
	s_barrier_signal -1
	s_barrier_wait -1
	global_inv scope:SCOPE_SE
	scratch_load_b32 v196, off, off offset:416 th:TH_LOAD_LU ; 4-byte Folded Reload
	v_fmamk_f32 v156, v194, 0xbf5db3d7, v144
	v_fmac_f32_e32 v144, 0x3f5db3d7, v194
	s_wait_loadcnt 0x0
	ds_store_2addr_b64 v196, v[140:141], v[156:157] offset1:3
	ds_store_b64 v196, v[144:145] offset:48
	v_add_f32_e32 v140, v177, v179
	v_dual_add_f32 v144, v146, v177 :: v_dual_sub_f32 v157, v177, v179
	scratch_load_b32 v177, off, off offset:424 th:TH_LOAD_LU ; 4-byte Folded Reload
	v_add_f32_e32 v145, v178, v193
	v_fma_f32 v146, -0.5, v140, v146
	v_add_f32_e32 v140, v147, v178
	v_sub_f32_e32 v156, v178, v193
	s_delay_alu instid0(VALU_DEP_4) | instskip(NEXT) | instid1(VALU_DEP_3)
	v_fmac_f32_e32 v147, -0.5, v145
	v_add_f32_e32 v141, v140, v193
	v_add_f32_e32 v140, v144, v179
	s_delay_alu instid0(VALU_DEP_4) | instskip(NEXT) | instid1(VALU_DEP_4)
	v_fmamk_f32 v144, v156, 0xbf5db3d7, v146
	v_dual_fmamk_f32 v145, v157, 0x3f5db3d7, v147 :: v_dual_fmac_f32 v146, 0x3f5db3d7, v156
	v_dual_fmac_f32 v147, 0xbf5db3d7, v157 :: v_dual_sub_f32 v156, v176, v174
	s_wait_loadcnt 0x0
	ds_store_2addr_b64 v177, v[140:141], v[144:145] offset1:3
	v_dual_add_f32 v145, v176, v174 :: v_dual_add_f32 v140, v149, v176
	v_add_f32_e32 v144, v175, v173
	ds_store_b64 v177, v[146:147] offset:48
	v_fma_f32 v145, -0.5, v145, v149
	scratch_load_b32 v149, off, off offset:420 th:TH_LOAD_LU ; 4-byte Folded Reload
	v_add_f32_e32 v141, v140, v174
	v_add_f32_e32 v140, v148, v175
	v_fma_f32 v144, -0.5, v144, v148
	v_sub_f32_e32 v148, v175, v173
	s_delay_alu instid0(VALU_DEP_3) | instskip(NEXT) | instid1(VALU_DEP_3)
	v_add_f32_e32 v140, v140, v173
	v_fmamk_f32 v146, v156, 0xbf5db3d7, v144
	s_delay_alu instid0(VALU_DEP_3)
	v_fmamk_f32 v147, v148, 0x3f5db3d7, v145
	v_fmac_f32_e32 v145, 0xbf5db3d7, v148
	scratch_load_b32 v148, off, off offset:412 th:TH_LOAD_LU ; 4-byte Folded Reload
	v_fmac_f32_e32 v144, 0x3f5db3d7, v156
	s_wait_loadcnt 0x1
	ds_store_2addr_b64 v149, v[140:141], v[146:147] offset1:3
	ds_store_b64 v149, v[144:145] offset:48
	v_dual_add_f32 v140, v165, v171 :: v_dual_add_f32 v145, v170, v172
	v_add_f32_e32 v144, v150, v165
	v_dual_sub_f32 v146, v170, v172 :: v_dual_sub_f32 v147, v165, v171
	s_delay_alu instid0(VALU_DEP_3) | instskip(NEXT) | instid1(VALU_DEP_4)
	v_fma_f32 v150, -0.5, v140, v150
	v_dual_add_f32 v140, v151, v170 :: v_dual_fmac_f32 v151, -0.5, v145
	v_sub_f32_e32 v149, v169, v167
	s_delay_alu instid0(VALU_DEP_2)
	v_add_f32_e32 v141, v140, v172
	v_add_f32_e32 v140, v144, v171
	v_fmamk_f32 v144, v146, 0xbf5db3d7, v150
	v_dual_fmamk_f32 v145, v147, 0x3f5db3d7, v151 :: v_dual_fmac_f32 v150, 0x3f5db3d7, v146
	v_fmac_f32_e32 v151, 0xbf5db3d7, v147
	s_wait_loadcnt 0x0
	ds_store_2addr_b64 v148, v[140:141], v[144:145] offset1:3
	v_add_f32_e32 v140, v153, v164
	ds_store_b64 v148, v[150:151] offset:48
	scratch_load_b32 v150, off, off offset:408 th:TH_LOAD_LU ; 4-byte Folded Reload
	v_dual_add_f32 v145, v164, v168 :: v_dual_add_f32 v144, v169, v167
	v_sub_f32_e32 v148, v164, v168
	v_add_f32_e32 v141, v140, v168
	v_add_f32_e32 v140, v152, v169
	s_delay_alu instid0(VALU_DEP_4) | instskip(SKIP_1) | instid1(VALU_DEP_2)
	v_fma_f32 v145, -0.5, v145, v153
	v_fma_f32 v144, -0.5, v144, v152
	v_dual_add_f32 v140, v140, v167 :: v_dual_fmamk_f32 v147, v149, 0x3f5db3d7, v145
	s_delay_alu instid0(VALU_DEP_2)
	v_fmamk_f32 v146, v148, 0xbf5db3d7, v144
	v_fmac_f32_e32 v144, 0x3f5db3d7, v148
	v_fmac_f32_e32 v145, 0xbf5db3d7, v149
	s_wait_loadcnt 0x0
	ds_store_2addr_b64 v150, v[140:141], v[146:147] offset1:3
	scratch_load_b32 v147, off, off offset:404 th:TH_LOAD_LU ; 4-byte Folded Reload
	ds_store_b64 v150, v[144:145] offset:48
	v_dual_add_f32 v140, v11, v159 :: v_dual_add_f32 v145, v158, v166
	v_add_f32_e32 v144, v154, v11
	v_dual_sub_f32 v146, v158, v166 :: v_dual_sub_f32 v11, v11, v159
	s_delay_alu instid0(VALU_DEP_3) | instskip(NEXT) | instid1(VALU_DEP_4)
	v_fma_f32 v154, -0.5, v140, v154
	v_dual_add_f32 v140, v155, v158 :: v_dual_fmac_f32 v155, -0.5, v145
	s_delay_alu instid0(VALU_DEP_1) | instskip(SKIP_1) | instid1(VALU_DEP_4)
	v_add_f32_e32 v141, v140, v166
	v_add_f32_e32 v140, v144, v159
	v_fmamk_f32 v144, v146, 0xbf5db3d7, v154
	s_delay_alu instid0(VALU_DEP_4)
	v_fmamk_f32 v145, v11, 0x3f5db3d7, v155
	v_fmac_f32_e32 v155, 0xbf5db3d7, v11
	v_add_f32_e32 v11, v161, v10
	v_fmac_f32_e32 v154, 0x3f5db3d7, v146
	s_wait_loadcnt 0x0
	ds_store_2addr_b64 v147, v[140:141], v[144:145] offset1:3
	v_add_f32_e32 v145, v10, v8
	v_sub_f32_e32 v10, v10, v8
	v_dual_add_f32 v141, v11, v8 :: v_dual_add_f32 v8, v160, v9
	ds_store_b64 v147, v[154:155] offset:48
	v_fma_f32 v145, -0.5, v145, v161
	v_add_f32_e32 v140, v8, v7
	v_add_f32_e32 v8, v9, v7
	s_delay_alu instid0(VALU_DEP_1) | instskip(SKIP_4) | instid1(VALU_DEP_2)
	v_fma_f32 v144, -0.5, v8, v160
	scratch_load_b32 v8, off, off offset:400 th:TH_LOAD_LU ; 4-byte Folded Reload
	v_fmamk_f32 v146, v10, 0xbf5db3d7, v144
	v_dual_fmac_f32 v144, 0x3f5db3d7, v10 :: v_dual_sub_f32 v7, v9, v7
	v_add_f32_e32 v9, v4, v6
	v_fmamk_f32 v147, v7, 0x3f5db3d7, v145
	v_fmac_f32_e32 v145, 0xbf5db3d7, v7
	v_add_f32_e32 v7, v3, v5
	s_wait_loadcnt 0x0
	ds_store_2addr_b64 v8, v[140:141], v[146:147] offset1:3
	ds_store_b64 v8, v[144:145] offset:48
	v_dual_add_f32 v8, v162, v3 :: v_dual_sub_f32 v3, v3, v5
	v_fma_f32 v162, -0.5, v7, v162
	v_dual_add_f32 v7, v163, v4 :: v_dual_sub_f32 v4, v4, v6
	s_delay_alu instid0(VALU_DEP_3) | instskip(SKIP_4) | instid1(VALU_DEP_3)
	v_add_f32_e32 v140, v8, v5
	scratch_load_b32 v5, off, off offset:392 th:TH_LOAD_LU ; 4-byte Folded Reload
	v_fmac_f32_e32 v163, -0.5, v9
	v_dual_add_f32 v141, v7, v6 :: v_dual_fmamk_f32 v144, v4, 0xbf5db3d7, v162
	v_fmac_f32_e32 v162, 0x3f5db3d7, v4
	v_dual_add_f32 v4, v142, v1 :: v_dual_fmamk_f32 v145, v3, 0x3f5db3d7, v163
	v_fmac_f32_e32 v163, 0xbf5db3d7, v3
	v_add_f32_e32 v3, v1, v192
	s_delay_alu instid0(VALU_DEP_1)
	v_fma_f32 v142, -0.5, v3, v142
	v_add_f32_e32 v3, v2, v0
	s_wait_loadcnt 0x0
	ds_store_2addr_b64 v5, v[140:141], v[144:145] offset1:3
	ds_store_b64 v5, v[162:163] offset:48
	v_dual_add_f32 v5, v143, v2 :: v_dual_sub_f32 v2, v2, v0
	v_dual_fmac_f32 v143, -0.5, v3 :: v_dual_add_f32 v140, v4, v192
	s_delay_alu instid0(VALU_DEP_2)
	v_add_f32_e32 v141, v5, v0
	v_sub_f32_e32 v0, v1, v192
	scratch_load_b32 v1, off, off offset:396 th:TH_LOAD_LU ; 4-byte Folded Reload
	v_fmamk_f32 v144, v2, 0xbf5db3d7, v142
	v_dual_fmac_f32 v142, 0x3f5db3d7, v2 :: v_dual_fmamk_f32 v145, v0, 0x3f5db3d7, v143
	v_fmac_f32_e32 v143, 0xbf5db3d7, v0
	s_wait_loadcnt 0x0
	ds_store_2addr_b64 v1, v[140:141], v[144:145] offset1:3
	ds_store_b64 v1, v[142:143] offset:48
	global_wb scope:SCOPE_SE
	s_wait_dscnt 0x0
	s_barrier_signal -1
	s_barrier_wait -1
	global_inv scope:SCOPE_SE
	ds_load_b64 v[141:142], v255 offset:13104
	s_wait_dscnt 0x0
	v_mul_f32_e32 v140, v139, v142
	v_mul_f32_e32 v0, v139, v141
	s_delay_alu instid0(VALU_DEP_2) | instskip(NEXT) | instid1(VALU_DEP_2)
	v_fmac_f32_e32 v140, v138, v141
	v_fma_f32 v0, v138, v142, -v0
	ds_load_2addr_b64 v[141:144], v241 offset0:112 offset1:175
	s_wait_dscnt 0x0
	v_mul_f32_e32 v1, v137, v144
	v_mul_f32_e32 v2, v137, v143
	;; [unrolled: 1-line block ×3, first 2 shown]
	s_delay_alu instid0(VALU_DEP_2) | instskip(NEXT) | instid1(VALU_DEP_4)
	v_fma_f32 v2, v136, v144, -v2
	v_fmac_f32_e32 v1, v136, v143
	ds_load_2addr_b64 v[136:139], v208 offset0:104 offset1:167
	v_mul_f32_e32 v3, v133, v142
	v_fma_f32 v4, v132, v142, -v4
	s_delay_alu instid0(VALU_DEP_2) | instskip(SKIP_4) | instid1(VALU_DEP_3)
	v_fmac_f32_e32 v3, v132, v141
	s_wait_dscnt 0x0
	v_mul_f32_e32 v7, v131, v137
	v_mul_f32_e32 v8, v131, v136
	;; [unrolled: 1-line block ×3, first 2 shown]
	v_dual_mul_f32 v6, v135, v138 :: v_dual_fmac_f32 v7, v130, v136
	s_delay_alu instid0(VALU_DEP_3)
	v_fma_f32 v8, v130, v137, -v8
	ds_load_2addr_b64 v[130:133], v203 offset0:114 offset1:177
	v_fmac_f32_e32 v5, v134, v138
	v_fma_f32 v6, v134, v139, -v6
	s_wait_dscnt 0x0
	v_mul_f32_e32 v9, v129, v133
	v_mul_f32_e32 v10, v129, v132
	v_mul_f32_e32 v11, v125, v131
	v_mul_f32_e32 v125, v125, v130
	s_delay_alu instid0(VALU_DEP_4) | instskip(NEXT) | instid1(VALU_DEP_4)
	v_fmac_f32_e32 v9, v128, v132
	v_fma_f32 v10, v128, v133, -v10
	s_delay_alu instid0(VALU_DEP_4) | instskip(NEXT) | instid1(VALU_DEP_4)
	v_fmac_f32_e32 v11, v124, v130
	v_fma_f32 v132, v124, v131, -v125
	ds_load_2addr_b64 v[128:131], v202 offset0:106 offset1:169
	s_wait_dscnt 0x0
	v_mul_f32_e32 v133, v127, v131
	v_mul_f32_e32 v124, v127, v130
	v_mul_f32_e32 v127, v123, v129
	v_mul_f32_e32 v123, v123, v128
	s_delay_alu instid0(VALU_DEP_4) | instskip(NEXT) | instid1(VALU_DEP_4)
	v_fmac_f32_e32 v133, v126, v130
	v_fma_f32 v126, v126, v131, -v124
	s_delay_alu instid0(VALU_DEP_4) | instskip(NEXT) | instid1(VALU_DEP_4)
	v_fmac_f32_e32 v127, v122, v128
	v_fma_f32 v128, v122, v129, -v123
	ds_load_2addr_b64 v[122:125], v254 offset0:116 offset1:179
	;; [unrolled: 12-line block ×3, first 2 shown]
	s_wait_dscnt 0x0
	v_mul_f32_e32 v116, v119, v122
	v_mul_f32_e32 v137, v115, v121
	;; [unrolled: 1-line block ×4, first 2 shown]
	s_delay_alu instid0(VALU_DEP_4) | instskip(NEXT) | instid1(VALU_DEP_4)
	v_fma_f32 v136, v118, v123, -v116
	v_fmac_f32_e32 v137, v114, v120
	s_delay_alu instid0(VALU_DEP_4)
	v_fma_f32 v138, v114, v121, -v115
	ds_load_2addr_b64 v[114:117], v201 offset0:118 offset1:181
	v_fmac_f32_e32 v135, v118, v122
	s_wait_dscnt 0x0
	v_mul_f32_e32 v139, v113, v117
	v_mul_f32_e32 v113, v113, v116
	;; [unrolled: 1-line block ×4, first 2 shown]
	s_delay_alu instid0(VALU_DEP_4) | instskip(NEXT) | instid1(VALU_DEP_4)
	v_fmac_f32_e32 v139, v112, v116
	v_fma_f32 v141, v112, v117, -v113
	s_delay_alu instid0(VALU_DEP_4) | instskip(NEXT) | instid1(VALU_DEP_4)
	v_fmac_f32_e32 v142, v108, v114
	v_fma_f32 v143, v108, v115, -v109
	ds_load_2addr_b64 v[112:115], v199 offset0:110 offset1:173
	s_wait_dscnt 0x0
	v_mul_f32_e32 v144, v111, v115
	v_mul_f32_e32 v108, v111, v114
	s_delay_alu instid0(VALU_DEP_2) | instskip(SKIP_2) | instid1(VALU_DEP_4)
	v_fmac_f32_e32 v144, v110, v114
	v_mul_f32_e32 v114, v107, v113
	v_mul_f32_e32 v107, v107, v112
	v_fma_f32 v145, v110, v115, -v108
	s_delay_alu instid0(VALU_DEP_3) | instskip(NEXT) | instid1(VALU_DEP_3)
	v_fmac_f32_e32 v114, v106, v112
	v_fma_f32 v112, v106, v113, -v107
	ds_load_2addr_b64 v[106:109], v242 offset0:120 offset1:183
	s_wait_dscnt 0x0
	v_mul_f32_e32 v113, v105, v109
	v_mul_f32_e32 v105, v105, v108
	s_delay_alu instid0(VALU_DEP_2) | instskip(NEXT) | instid1(VALU_DEP_2)
	v_fmac_f32_e32 v113, v104, v108
	v_fma_f32 v104, v104, v109, -v105
	ds_load_2addr_b64 v[108:111], v255 offset1:63
	v_sub_f32_e32 v147, v113, v114
	v_add_f32_e32 v115, v104, v112
	v_sub_f32_e32 v146, v104, v112
	s_wait_dscnt 0x0
	v_dual_add_f32 v105, v109, v104 :: v_dual_add_f32 v104, v108, v113
	s_delay_alu instid0(VALU_DEP_3) | instskip(NEXT) | instid1(VALU_DEP_2)
	v_fma_f32 v109, -0.5, v115, v109
	v_add_f32_e32 v105, v105, v112
	v_add_f32_e32 v112, v113, v114
	s_delay_alu instid0(VALU_DEP_3) | instskip(SKIP_1) | instid1(VALU_DEP_3)
	v_dual_add_f32 v104, v104, v114 :: v_dual_fmamk_f32 v125, v147, 0x3f5db3d7, v109
	v_fmac_f32_e32 v109, 0xbf5db3d7, v147
	v_fma_f32 v108, -0.5, v112, v108
	ds_load_2addr_b64 v[112:115], v255 offset0:126 offset1:189
	ds_load_2addr_b64 v[116:119], v243 offset0:124 offset1:187
	;; [unrolled: 1-line block ×3, first 2 shown]
	global_wb scope:SCOPE_SE
	s_wait_dscnt 0x0
	s_barrier_signal -1
	s_barrier_wait -1
	global_inv scope:SCOPE_SE
	scratch_load_b32 v148, off, off offset:380 th:TH_LOAD_LU ; 4-byte Folded Reload
	v_fmamk_f32 v124, v146, 0xbf5db3d7, v108
	v_fmac_f32_e32 v108, 0x3f5db3d7, v146
	s_wait_loadcnt 0x0
	ds_store_2addr_b64 v148, v[104:105], v[124:125] offset1:9
	ds_store_b64 v148, v[108:109] offset:144
	v_add_f32_e32 v104, v142, v144
	v_add_f32_e32 v108, v110, v142
	v_sub_f32_e32 v125, v142, v144
	scratch_load_b32 v142, off, off offset:388 th:TH_LOAD_LU ; 4-byte Folded Reload
	v_add_f32_e32 v109, v143, v145
	v_fma_f32 v110, -0.5, v104, v110
	v_add_f32_e32 v104, v111, v143
	v_sub_f32_e32 v124, v143, v145
	s_delay_alu instid0(VALU_DEP_4) | instskip(NEXT) | instid1(VALU_DEP_3)
	v_fmac_f32_e32 v111, -0.5, v109
	v_add_f32_e32 v105, v104, v145
	v_add_f32_e32 v104, v108, v144
	s_delay_alu instid0(VALU_DEP_4) | instskip(NEXT) | instid1(VALU_DEP_4)
	v_fmamk_f32 v108, v124, 0xbf5db3d7, v110
	v_dual_fmamk_f32 v109, v125, 0x3f5db3d7, v111 :: v_dual_fmac_f32 v110, 0x3f5db3d7, v124
	v_dual_fmac_f32 v111, 0xbf5db3d7, v125 :: v_dual_sub_f32 v124, v141, v138
	s_wait_loadcnt 0x0
	ds_store_2addr_b64 v142, v[104:105], v[108:109] offset1:9
	v_add_f32_e32 v109, v141, v138
	v_add_f32_e32 v104, v113, v141
	;; [unrolled: 1-line block ×3, first 2 shown]
	ds_store_b64 v142, v[110:111] offset:144
	v_fma_f32 v109, -0.5, v109, v113
	scratch_load_b32 v113, off, off offset:384 th:TH_LOAD_LU ; 4-byte Folded Reload
	v_add_f32_e32 v105, v104, v138
	v_add_f32_e32 v104, v112, v139
	v_fma_f32 v108, -0.5, v108, v112
	v_sub_f32_e32 v112, v139, v137
	s_delay_alu instid0(VALU_DEP_3) | instskip(NEXT) | instid1(VALU_DEP_3)
	v_add_f32_e32 v104, v104, v137
	v_fmamk_f32 v110, v124, 0xbf5db3d7, v108
	s_delay_alu instid0(VALU_DEP_3)
	v_fmamk_f32 v111, v112, 0x3f5db3d7, v109
	v_fmac_f32_e32 v109, 0xbf5db3d7, v112
	scratch_load_b32 v112, off, off offset:376 th:TH_LOAD_LU ; 4-byte Folded Reload
	v_fmac_f32_e32 v108, 0x3f5db3d7, v124
	s_wait_loadcnt 0x1
	ds_store_2addr_b64 v113, v[104:105], v[110:111] offset1:9
	ds_store_b64 v113, v[108:109] offset:144
	v_dual_add_f32 v104, v131, v135 :: v_dual_add_f32 v109, v134, v136
	v_add_f32_e32 v108, v114, v131
	v_dual_sub_f32 v110, v134, v136 :: v_dual_sub_f32 v111, v131, v135
	s_delay_alu instid0(VALU_DEP_3) | instskip(NEXT) | instid1(VALU_DEP_4)
	v_fma_f32 v114, -0.5, v104, v114
	v_dual_add_f32 v104, v115, v134 :: v_dual_fmac_f32 v115, -0.5, v109
	v_sub_f32_e32 v113, v129, v127
	s_delay_alu instid0(VALU_DEP_2)
	v_add_f32_e32 v105, v104, v136
	v_add_f32_e32 v104, v108, v135
	v_fmamk_f32 v108, v110, 0xbf5db3d7, v114
	v_dual_fmamk_f32 v109, v111, 0x3f5db3d7, v115 :: v_dual_fmac_f32 v114, 0x3f5db3d7, v110
	v_fmac_f32_e32 v115, 0xbf5db3d7, v111
	s_wait_loadcnt 0x0
	ds_store_2addr_b64 v112, v[104:105], v[108:109] offset1:9
	v_add_f32_e32 v104, v117, v130
	ds_store_b64 v112, v[114:115] offset:144
	scratch_load_b32 v114, off, off offset:372 th:TH_LOAD_LU ; 4-byte Folded Reload
	v_dual_add_f32 v109, v130, v128 :: v_dual_add_f32 v108, v129, v127
	v_sub_f32_e32 v112, v130, v128
	v_add_f32_e32 v105, v104, v128
	v_add_f32_e32 v104, v116, v129
	s_delay_alu instid0(VALU_DEP_4) | instskip(SKIP_1) | instid1(VALU_DEP_2)
	v_fma_f32 v109, -0.5, v109, v117
	v_fma_f32 v108, -0.5, v108, v116
	v_dual_add_f32 v104, v104, v127 :: v_dual_fmamk_f32 v111, v113, 0x3f5db3d7, v109
	s_delay_alu instid0(VALU_DEP_2)
	v_fmamk_f32 v110, v112, 0xbf5db3d7, v108
	v_fmac_f32_e32 v108, 0x3f5db3d7, v112
	v_fmac_f32_e32 v109, 0xbf5db3d7, v113
	s_wait_loadcnt 0x0
	ds_store_2addr_b64 v114, v[104:105], v[110:111] offset1:9
	scratch_load_b32 v111, off, off offset:368 th:TH_LOAD_LU ; 4-byte Folded Reload
	ds_store_b64 v114, v[108:109] offset:144
	v_dual_add_f32 v104, v11, v133 :: v_dual_add_f32 v109, v132, v126
	v_add_f32_e32 v108, v118, v11
	v_dual_sub_f32 v110, v132, v126 :: v_dual_sub_f32 v11, v11, v133
	s_delay_alu instid0(VALU_DEP_3) | instskip(NEXT) | instid1(VALU_DEP_4)
	v_fma_f32 v118, -0.5, v104, v118
	v_dual_add_f32 v104, v119, v132 :: v_dual_fmac_f32 v119, -0.5, v109
	s_delay_alu instid0(VALU_DEP_1) | instskip(SKIP_1) | instid1(VALU_DEP_4)
	v_add_f32_e32 v105, v104, v126
	v_add_f32_e32 v104, v108, v133
	v_fmamk_f32 v108, v110, 0xbf5db3d7, v118
	s_delay_alu instid0(VALU_DEP_4)
	v_fmamk_f32 v109, v11, 0x3f5db3d7, v119
	v_fmac_f32_e32 v119, 0xbf5db3d7, v11
	v_add_f32_e32 v11, v121, v10
	v_fmac_f32_e32 v118, 0x3f5db3d7, v110
	s_wait_loadcnt 0x0
	ds_store_2addr_b64 v111, v[104:105], v[108:109] offset1:9
	v_add_f32_e32 v109, v10, v8
	v_sub_f32_e32 v10, v10, v8
	v_dual_add_f32 v105, v11, v8 :: v_dual_add_f32 v8, v120, v9
	ds_store_b64 v111, v[118:119] offset:144
	v_fma_f32 v109, -0.5, v109, v121
	v_add_f32_e32 v104, v8, v7
	v_add_f32_e32 v8, v9, v7
	v_sub_f32_e32 v7, v9, v7
	v_add_f32_e32 v9, v4, v6
	s_delay_alu instid0(VALU_DEP_3)
	v_fma_f32 v108, -0.5, v8, v120
	scratch_load_b32 v8, off, off offset:364 th:TH_LOAD_LU ; 4-byte Folded Reload
	v_fmamk_f32 v111, v7, 0x3f5db3d7, v109
	v_fmac_f32_e32 v109, 0xbf5db3d7, v7
	v_dual_add_f32 v7, v3, v5 :: v_dual_fmamk_f32 v110, v10, 0xbf5db3d7, v108
	v_fmac_f32_e32 v108, 0x3f5db3d7, v10
	s_wait_loadcnt 0x0
	ds_store_2addr_b64 v8, v[104:105], v[110:111] offset1:9
	ds_store_b64 v8, v[108:109] offset:144
	v_dual_add_f32 v8, v122, v3 :: v_dual_sub_f32 v3, v3, v5
	v_fma_f32 v122, -0.5, v7, v122
	v_dual_add_f32 v7, v123, v4 :: v_dual_sub_f32 v4, v4, v6
	s_delay_alu instid0(VALU_DEP_3) | instskip(SKIP_4) | instid1(VALU_DEP_3)
	v_add_f32_e32 v104, v8, v5
	scratch_load_b32 v5, off, off offset:356 th:TH_LOAD_LU ; 4-byte Folded Reload
	v_fmac_f32_e32 v123, -0.5, v9
	v_dual_add_f32 v105, v7, v6 :: v_dual_fmamk_f32 v108, v4, 0xbf5db3d7, v122
	v_fmac_f32_e32 v122, 0x3f5db3d7, v4
	v_dual_add_f32 v4, v106, v1 :: v_dual_fmamk_f32 v109, v3, 0x3f5db3d7, v123
	v_fmac_f32_e32 v123, 0xbf5db3d7, v3
	v_add_f32_e32 v3, v1, v140
	s_delay_alu instid0(VALU_DEP_1)
	v_fma_f32 v106, -0.5, v3, v106
	v_add_f32_e32 v3, v2, v0
	s_wait_loadcnt 0x0
	ds_store_2addr_b64 v5, v[104:105], v[108:109] offset1:9
	ds_store_b64 v5, v[122:123] offset:144
	v_dual_add_f32 v5, v107, v2 :: v_dual_sub_f32 v2, v2, v0
	v_dual_fmac_f32 v107, -0.5, v3 :: v_dual_add_f32 v104, v4, v140
	s_delay_alu instid0(VALU_DEP_2)
	v_add_f32_e32 v105, v5, v0
	v_sub_f32_e32 v0, v1, v140
	scratch_load_b32 v1, off, off offset:360 th:TH_LOAD_LU ; 4-byte Folded Reload
	v_fmamk_f32 v108, v2, 0xbf5db3d7, v106
	v_dual_fmac_f32 v106, 0x3f5db3d7, v2 :: v_dual_fmamk_f32 v109, v0, 0x3f5db3d7, v107
	v_fmac_f32_e32 v107, 0xbf5db3d7, v0
	s_wait_loadcnt 0x0
	ds_store_2addr_b64 v1, v[104:105], v[108:109] offset1:9
	ds_store_b64 v1, v[106:107] offset:144
	global_wb scope:SCOPE_SE
	s_wait_dscnt 0x0
	s_barrier_signal -1
	s_barrier_wait -1
	global_inv scope:SCOPE_SE
	ds_load_b64 v[105:106], v255 offset:13104
	s_wait_dscnt 0x0
	v_mul_f32_e32 v104, v103, v106
	v_mul_f32_e32 v0, v103, v105
	s_delay_alu instid0(VALU_DEP_2) | instskip(NEXT) | instid1(VALU_DEP_2)
	v_fmac_f32_e32 v104, v102, v105
	v_fma_f32 v0, v102, v106, -v0
	ds_load_2addr_b64 v[105:108], v241 offset0:112 offset1:175
	s_wait_dscnt 0x0
	v_mul_f32_e32 v1, v101, v108
	v_mul_f32_e32 v2, v101, v107
	;; [unrolled: 1-line block ×3, first 2 shown]
	s_delay_alu instid0(VALU_DEP_3) | instskip(NEXT) | instid1(VALU_DEP_3)
	v_dual_mul_f32 v4, v97, v105 :: v_dual_fmac_f32 v1, v100, v107
	v_fma_f32 v2, v100, v108, -v2
	ds_load_2addr_b64 v[100:103], v208 offset0:104 offset1:167
	v_fmac_f32_e32 v3, v96, v105
	v_fma_f32 v4, v96, v106, -v4
	s_wait_dscnt 0x0
	v_mul_f32_e32 v7, v95, v101
	v_mul_f32_e32 v8, v95, v100
	;; [unrolled: 1-line block ×3, first 2 shown]
	s_delay_alu instid0(VALU_DEP_3) | instskip(NEXT) | instid1(VALU_DEP_3)
	v_dual_mul_f32 v6, v99, v102 :: v_dual_fmac_f32 v7, v94, v100
	v_fma_f32 v8, v94, v101, -v8
	ds_load_2addr_b64 v[94:97], v203 offset0:114 offset1:177
	v_fmac_f32_e32 v5, v98, v102
	v_fma_f32 v6, v98, v103, -v6
	s_wait_dscnt 0x0
	v_mul_f32_e32 v9, v93, v97
	v_mul_f32_e32 v10, v93, v96
	v_mul_f32_e32 v11, v89, v95
	v_mul_f32_e32 v89, v89, v94
	s_delay_alu instid0(VALU_DEP_4) | instskip(NEXT) | instid1(VALU_DEP_4)
	v_fmac_f32_e32 v9, v92, v96
	v_fma_f32 v10, v92, v97, -v10
	s_delay_alu instid0(VALU_DEP_4) | instskip(NEXT) | instid1(VALU_DEP_4)
	v_fmac_f32_e32 v11, v88, v94
	v_fma_f32 v96, v88, v95, -v89
	ds_load_2addr_b64 v[92:95], v202 offset0:106 offset1:169
	s_wait_dscnt 0x0
	v_mul_f32_e32 v97, v91, v95
	v_mul_f32_e32 v88, v91, v94
	v_mul_f32_e32 v91, v87, v93
	v_mul_f32_e32 v87, v87, v92
	s_delay_alu instid0(VALU_DEP_4) | instskip(NEXT) | instid1(VALU_DEP_4)
	v_fmac_f32_e32 v97, v90, v94
	v_fma_f32 v90, v90, v95, -v88
	s_delay_alu instid0(VALU_DEP_4) | instskip(NEXT) | instid1(VALU_DEP_4)
	v_fmac_f32_e32 v91, v86, v92
	v_fma_f32 v92, v86, v93, -v87
	ds_load_2addr_b64 v[86:89], v254 offset0:116 offset1:179
	;; [unrolled: 12-line block ×3, first 2 shown]
	s_wait_dscnt 0x0
	v_mul_f32_e32 v68, v71, v86
	v_mul_f32_e32 v101, v67, v85
	;; [unrolled: 1-line block ×4, first 2 shown]
	s_delay_alu instid0(VALU_DEP_4) | instskip(NEXT) | instid1(VALU_DEP_4)
	v_fma_f32 v100, v70, v87, -v68
	v_fmac_f32_e32 v101, v66, v84
	s_delay_alu instid0(VALU_DEP_4)
	v_fma_f32 v102, v66, v85, -v67
	ds_load_2addr_b64 v[66:69], v201 offset0:118 offset1:181
	v_fmac_f32_e32 v99, v70, v86
	s_wait_dscnt 0x0
	v_mul_f32_e32 v103, v65, v69
	v_mul_f32_e32 v65, v65, v68
	;; [unrolled: 1-line block ×4, first 2 shown]
	s_delay_alu instid0(VALU_DEP_4) | instskip(NEXT) | instid1(VALU_DEP_4)
	v_fmac_f32_e32 v103, v64, v68
	v_fma_f32 v105, v64, v69, -v65
	s_delay_alu instid0(VALU_DEP_4) | instskip(NEXT) | instid1(VALU_DEP_4)
	v_fmac_f32_e32 v106, v44, v66
	v_fma_f32 v107, v44, v67, -v45
	ds_load_2addr_b64 v[64:67], v199 offset0:110 offset1:173
	s_wait_dscnt 0x0
	v_mul_f32_e32 v108, v47, v67
	v_mul_f32_e32 v44, v47, v66
	s_delay_alu instid0(VALU_DEP_2) | instskip(NEXT) | instid1(VALU_DEP_2)
	v_fmac_f32_e32 v108, v46, v66
	v_fma_f32 v109, v46, v67, -v44
	ds_load_2addr_b64 v[44:47], v242 offset0:120 offset1:183
	v_mul_f32_e32 v66, v35, v65
	v_mul_f32_e32 v35, v35, v64
	s_delay_alu instid0(VALU_DEP_2) | instskip(NEXT) | instid1(VALU_DEP_2)
	v_fmac_f32_e32 v66, v34, v64
	v_fma_f32 v64, v34, v65, -v35
	s_wait_dscnt 0x0
	v_mul_f32_e32 v65, v33, v47
	v_mul_f32_e32 v33, v33, v46
	s_delay_alu instid0(VALU_DEP_2) | instskip(NEXT) | instid1(VALU_DEP_2)
	v_fmac_f32_e32 v65, v32, v46
	v_fma_f32 v46, v32, v47, -v33
	ds_load_2addr_b64 v[32:35], v255 offset1:63
	v_sub_f32_e32 v111, v65, v66
	v_add_f32_e32 v67, v46, v64
	s_wait_dscnt 0x0
	v_dual_sub_f32 v110, v46, v64 :: v_dual_add_f32 v47, v33, v46
	v_add_f32_e32 v46, v32, v65
	s_delay_alu instid0(VALU_DEP_3) | instskip(NEXT) | instid1(VALU_DEP_3)
	v_fma_f32 v33, -0.5, v67, v33
	v_dual_add_f32 v47, v47, v64 :: v_dual_add_f32 v64, v65, v66
	s_delay_alu instid0(VALU_DEP_2) | instskip(SKIP_1) | instid1(VALU_DEP_3)
	v_dual_add_f32 v46, v46, v66 :: v_dual_fmamk_f32 v89, v111, 0x3f5db3d7, v33
	v_fmac_f32_e32 v33, 0xbf5db3d7, v111
	v_fma_f32 v32, -0.5, v64, v32
	ds_load_2addr_b64 v[64:67], v255 offset0:126 offset1:189
	ds_load_2addr_b64 v[68:71], v243 offset0:124 offset1:187
	ds_load_2addr_b64 v[84:87], v198 offset0:122 offset1:185
	global_wb scope:SCOPE_SE
	s_wait_dscnt 0x0
	s_barrier_signal -1
	s_barrier_wait -1
	global_inv scope:SCOPE_SE
	scratch_load_b32 v112, off, off offset:332 th:TH_LOAD_LU ; 4-byte Folded Reload
	v_fmamk_f32 v88, v110, 0xbf5db3d7, v32
	v_fmac_f32_e32 v32, 0x3f5db3d7, v110
	s_wait_loadcnt 0x0
	ds_store_2addr_b64 v112, v[46:47], v[88:89] offset1:27
	ds_store_b64 v112, v[32:33] offset:432
	v_add_f32_e32 v32, v106, v108
	v_add_f32_e32 v46, v34, v106
	v_sub_f32_e32 v89, v106, v108
	scratch_load_b32 v106, off, off offset:340 th:TH_LOAD_LU ; 4-byte Folded Reload
	v_add_f32_e32 v47, v107, v109
	v_fma_f32 v34, -0.5, v32, v34
	v_add_f32_e32 v32, v35, v107
	s_delay_alu instid0(VALU_DEP_3) | instskip(NEXT) | instid1(VALU_DEP_2)
	v_dual_sub_f32 v88, v107, v109 :: v_dual_fmac_f32 v35, -0.5, v47
	v_dual_add_f32 v33, v32, v109 :: v_dual_add_f32 v32, v46, v108
	s_delay_alu instid0(VALU_DEP_2) | instskip(NEXT) | instid1(VALU_DEP_3)
	v_fmamk_f32 v46, v88, 0xbf5db3d7, v34
	v_dual_fmamk_f32 v47, v89, 0x3f5db3d7, v35 :: v_dual_fmac_f32 v34, 0x3f5db3d7, v88
	v_dual_fmac_f32 v35, 0xbf5db3d7, v89 :: v_dual_sub_f32 v88, v105, v102
	s_wait_loadcnt 0x0
	ds_store_b64 v106, v[34:35] offset:432
	v_add_f32_e32 v35, v105, v102
	ds_store_2addr_b64 v106, v[32:33], v[46:47] offset1:27
	v_add_f32_e32 v32, v65, v105
	v_add_f32_e32 v34, v103, v101
	v_fma_f32 v35, -0.5, v35, v65
	scratch_load_b32 v65, off, off offset:336 th:TH_LOAD_LU ; 4-byte Folded Reload
	v_add_f32_e32 v33, v32, v102
	v_add_f32_e32 v32, v64, v103
	v_fma_f32 v34, -0.5, v34, v64
	v_sub_f32_e32 v64, v103, v101
	s_delay_alu instid0(VALU_DEP_3) | instskip(NEXT) | instid1(VALU_DEP_3)
	v_add_f32_e32 v32, v32, v101
	v_fmamk_f32 v46, v88, 0xbf5db3d7, v34
	s_delay_alu instid0(VALU_DEP_3)
	v_fmamk_f32 v47, v64, 0x3f5db3d7, v35
	v_fmac_f32_e32 v35, 0xbf5db3d7, v64
	scratch_load_b32 v64, off, off offset:328 th:TH_LOAD_LU ; 4-byte Folded Reload
	v_fmac_f32_e32 v34, 0x3f5db3d7, v88
	s_wait_loadcnt 0x1
	ds_store_2addr_b64 v65, v[32:33], v[46:47] offset1:27
	ds_store_b64 v65, v[34:35] offset:432
	v_dual_add_f32 v32, v95, v99 :: v_dual_add_f32 v35, v98, v100
	v_add_f32_e32 v34, v66, v95
	v_dual_sub_f32 v46, v98, v100 :: v_dual_sub_f32 v47, v95, v99
	s_delay_alu instid0(VALU_DEP_3) | instskip(NEXT) | instid1(VALU_DEP_4)
	v_fma_f32 v66, -0.5, v32, v66
	v_dual_add_f32 v32, v67, v98 :: v_dual_fmac_f32 v67, -0.5, v35
	v_sub_f32_e32 v65, v93, v91
	s_delay_alu instid0(VALU_DEP_2) | instskip(NEXT) | instid1(VALU_DEP_4)
	v_dual_add_f32 v33, v32, v100 :: v_dual_add_f32 v32, v34, v99
	v_fmamk_f32 v34, v46, 0xbf5db3d7, v66
	s_delay_alu instid0(VALU_DEP_4)
	v_dual_fmamk_f32 v35, v47, 0x3f5db3d7, v67 :: v_dual_fmac_f32 v66, 0x3f5db3d7, v46
	v_fmac_f32_e32 v67, 0xbf5db3d7, v47
	s_wait_loadcnt 0x0
	ds_store_2addr_b64 v64, v[32:33], v[34:35] offset1:27
	v_add_f32_e32 v32, v69, v94
	ds_store_b64 v64, v[66:67] offset:432
	scratch_load_b32 v66, off, off offset:324 th:TH_LOAD_LU ; 4-byte Folded Reload
	v_dual_add_f32 v35, v94, v92 :: v_dual_add_f32 v34, v93, v91
	v_sub_f32_e32 v64, v94, v92
	v_add_f32_e32 v33, v32, v92
	v_add_f32_e32 v32, v68, v93
	s_delay_alu instid0(VALU_DEP_4) | instskip(SKIP_1) | instid1(VALU_DEP_2)
	v_fma_f32 v35, -0.5, v35, v69
	v_fma_f32 v34, -0.5, v34, v68
	v_dual_add_f32 v32, v32, v91 :: v_dual_fmamk_f32 v47, v65, 0x3f5db3d7, v35
	s_delay_alu instid0(VALU_DEP_2)
	v_fmamk_f32 v46, v64, 0xbf5db3d7, v34
	v_fmac_f32_e32 v34, 0x3f5db3d7, v64
	v_fmac_f32_e32 v35, 0xbf5db3d7, v65
	s_wait_loadcnt 0x0
	ds_store_2addr_b64 v66, v[32:33], v[46:47] offset1:27
	scratch_load_b32 v47, off, off offset:316 th:TH_LOAD_LU ; 4-byte Folded Reload
	ds_store_b64 v66, v[34:35] offset:432
	v_dual_add_f32 v32, v11, v97 :: v_dual_add_f32 v35, v96, v90
	v_add_f32_e32 v34, v70, v11
	v_dual_sub_f32 v46, v96, v90 :: v_dual_sub_f32 v11, v11, v97
	s_delay_alu instid0(VALU_DEP_3) | instskip(NEXT) | instid1(VALU_DEP_4)
	v_fma_f32 v70, -0.5, v32, v70
	v_dual_add_f32 v32, v71, v96 :: v_dual_fmac_f32 v71, -0.5, v35
	s_delay_alu instid0(VALU_DEP_1) | instskip(NEXT) | instid1(VALU_DEP_3)
	v_dual_add_f32 v33, v32, v90 :: v_dual_add_f32 v32, v34, v97
	v_fmamk_f32 v34, v46, 0xbf5db3d7, v70
	s_delay_alu instid0(VALU_DEP_3)
	v_fmamk_f32 v35, v11, 0x3f5db3d7, v71
	v_fmac_f32_e32 v71, 0xbf5db3d7, v11
	v_add_f32_e32 v11, v85, v10
	v_fmac_f32_e32 v70, 0x3f5db3d7, v46
	s_wait_loadcnt 0x0
	ds_store_2addr_b64 v47, v[32:33], v[34:35] offset1:27
	v_add_f32_e32 v35, v10, v8
	v_sub_f32_e32 v10, v10, v8
	v_dual_add_f32 v33, v11, v8 :: v_dual_add_f32 v8, v84, v9
	ds_store_b64 v47, v[70:71] offset:432
	v_fma_f32 v35, -0.5, v35, v85
	v_add_f32_e32 v32, v8, v7
	v_add_f32_e32 v8, v9, v7
	v_sub_f32_e32 v7, v9, v7
	v_add_f32_e32 v9, v4, v6
	s_delay_alu instid0(VALU_DEP_3)
	v_fma_f32 v34, -0.5, v8, v84
	scratch_load_b32 v8, off, off offset:312 th:TH_LOAD_LU ; 4-byte Folded Reload
	v_fmamk_f32 v47, v7, 0x3f5db3d7, v35
	v_fmac_f32_e32 v35, 0xbf5db3d7, v7
	v_dual_add_f32 v7, v3, v5 :: v_dual_fmamk_f32 v46, v10, 0xbf5db3d7, v34
	v_fmac_f32_e32 v34, 0x3f5db3d7, v10
	s_wait_loadcnt 0x0
	ds_store_2addr_b64 v8, v[32:33], v[46:47] offset1:27
	ds_store_b64 v8, v[34:35] offset:432
	v_dual_add_f32 v8, v86, v3 :: v_dual_sub_f32 v3, v3, v5
	v_fma_f32 v86, -0.5, v7, v86
	v_dual_add_f32 v7, v87, v4 :: v_dual_sub_f32 v4, v4, v6
	s_delay_alu instid0(VALU_DEP_3) | instskip(SKIP_4) | instid1(VALU_DEP_3)
	v_add_f32_e32 v32, v8, v5
	scratch_load_b32 v5, off, off offset:304 th:TH_LOAD_LU ; 4-byte Folded Reload
	v_fmac_f32_e32 v87, -0.5, v9
	v_dual_add_f32 v33, v7, v6 :: v_dual_fmamk_f32 v34, v4, 0xbf5db3d7, v86
	v_fmac_f32_e32 v86, 0x3f5db3d7, v4
	v_dual_add_f32 v4, v44, v1 :: v_dual_fmamk_f32 v35, v3, 0x3f5db3d7, v87
	v_fmac_f32_e32 v87, 0xbf5db3d7, v3
	v_add_f32_e32 v3, v1, v104
	s_delay_alu instid0(VALU_DEP_1)
	v_fma_f32 v44, -0.5, v3, v44
	v_add_f32_e32 v3, v2, v0
	s_wait_loadcnt 0x0
	ds_store_2addr_b64 v5, v[32:33], v[34:35] offset1:27
	ds_store_b64 v5, v[86:87] offset:432
	v_dual_add_f32 v5, v45, v2 :: v_dual_sub_f32 v2, v2, v0
	v_dual_fmac_f32 v45, -0.5, v3 :: v_dual_add_f32 v32, v4, v104
	s_delay_alu instid0(VALU_DEP_2)
	v_add_f32_e32 v33, v5, v0
	v_sub_f32_e32 v0, v1, v104
	scratch_load_b32 v1, off, off offset:308 th:TH_LOAD_LU ; 4-byte Folded Reload
	v_fmamk_f32 v34, v2, 0xbf5db3d7, v44
	v_dual_fmac_f32 v44, 0x3f5db3d7, v2 :: v_dual_fmamk_f32 v35, v0, 0x3f5db3d7, v45
	v_fmac_f32_e32 v45, 0xbf5db3d7, v0
	s_wait_loadcnt 0x0
	ds_store_2addr_b64 v1, v[32:33], v[34:35] offset1:27
	ds_store_b64 v1, v[44:45] offset:432
	global_wb scope:SCOPE_SE
	s_wait_dscnt 0x0
	s_barrier_signal -1
	s_barrier_wait -1
	global_inv scope:SCOPE_SE
	scratch_load_b128 v[1:4], off, off offset:428 th:TH_LOAD_LU ; 16-byte Folded Reload
	ds_load_b64 v[33:34], v255 offset:13104
	ds_load_2addr_b64 v[44:47], v241 offset0:112 offset1:175
	ds_load_2addr_b64 v[10:13], v201 offset0:118 offset1:181
	s_wait_dscnt 0x1
	v_dual_mul_f32 v0, v83, v33 :: v_dual_mul_f32 v65, v81, v47
	v_dual_mul_f32 v67, v77, v45 :: v_dual_mul_f32 v32, v83, v34
	s_delay_alu instid0(VALU_DEP_2) | instskip(SKIP_1) | instid1(VALU_DEP_4)
	v_fma_f32 v64, v82, v34, -v0
	v_mul_f32_e32 v0, v81, v46
	v_fmac_f32_e32 v65, v80, v46
	s_delay_alu instid0(VALU_DEP_4) | instskip(NEXT) | instid1(VALU_DEP_3)
	v_dual_fmac_f32 v67, v76, v44 :: v_dual_fmac_f32 v32, v82, v33
	v_fma_f32 v66, v80, v47, -v0
	v_mul_f32_e32 v0, v77, v44
	s_delay_alu instid0(VALU_DEP_1)
	v_fma_f32 v68, v76, v45, -v0
	ds_load_2addr_b64 v[44:47], v208 offset0:104 offset1:167
	s_wait_dscnt 0x0
	v_mul_f32_e32 v0, v79, v46
	v_mul_f32_e32 v69, v79, v47
	;; [unrolled: 1-line block ×3, first 2 shown]
	s_delay_alu instid0(VALU_DEP_3) | instskip(NEXT) | instid1(VALU_DEP_3)
	v_fma_f32 v70, v78, v47, -v0
	v_dual_mul_f32 v0, v75, v44 :: v_dual_fmac_f32 v69, v78, v46
	s_delay_alu instid0(VALU_DEP_3) | instskip(NEXT) | instid1(VALU_DEP_2)
	v_fmac_f32_e32 v71, v74, v44
	v_fma_f32 v74, v74, v45, -v0
	ds_load_2addr_b64 v[44:47], v203 offset0:114 offset1:177
	s_wait_dscnt 0x0
	v_mul_f32_e32 v75, v73, v47
	v_mul_f32_e32 v0, v73, v46
	s_delay_alu instid0(VALU_DEP_2) | instskip(NEXT) | instid1(VALU_DEP_2)
	v_fmac_f32_e32 v75, v72, v46
	v_fma_f32 v46, v72, v47, -v0
	v_mul_f32_e32 v47, v37, v45
	v_mul_f32_e32 v0, v37, v44
	s_delay_alu instid0(VALU_DEP_2) | instskip(NEXT) | instid1(VALU_DEP_2)
	v_fmac_f32_e32 v47, v36, v44
	v_fma_f32 v37, v36, v45, -v0
	ds_load_2addr_b64 v[33:36], v202 offset0:106 offset1:169
	s_wait_dscnt 0x0
	v_mul_f32_e32 v44, v39, v36
	v_mul_f32_e32 v0, v39, v35
	s_delay_alu instid0(VALU_DEP_2) | instskip(NEXT) | instid1(VALU_DEP_2)
	v_dual_mul_f32 v39, v23, v34 :: v_dual_fmac_f32 v44, v38, v35
	v_fma_f32 v38, v38, v36, -v0
	v_mul_f32_e32 v0, v23, v33
	s_delay_alu instid0(VALU_DEP_3) | instskip(NEXT) | instid1(VALU_DEP_2)
	v_fmac_f32_e32 v39, v22, v33
	v_fma_f32 v45, v22, v34, -v0
	ds_load_2addr_b64 v[33:36], v254 offset0:116 offset1:179
	s_wait_dscnt 0x0
	v_mul_f32_e32 v72, v21, v36
	v_mul_f32_e32 v0, v21, v35
	s_delay_alu instid0(VALU_DEP_2) | instskip(NEXT) | instid1(VALU_DEP_2)
	v_fmac_f32_e32 v72, v20, v35
	v_fma_f32 v35, v20, v36, -v0
	ds_load_2addr_b64 v[20:23], v200 offset0:108 offset1:171
	s_wait_loadcnt 0x0
	v_mul_f32_e32 v0, v2, v33
	v_mul_f32_e32 v36, v2, v34
	s_wait_dscnt 0x0
	v_mul_f32_e32 v76, v4, v23
	s_delay_alu instid0(VALU_DEP_3) | instskip(SKIP_2) | instid1(VALU_DEP_4)
	v_fma_f32 v73, v1, v34, -v0
	v_mul_f32_e32 v0, v4, v22
	v_fmac_f32_e32 v36, v1, v33
	v_fmac_f32_e32 v76, v3, v22
	s_delay_alu instid0(VALU_DEP_3)
	v_fma_f32 v77, v3, v23, -v0
	scratch_load_b128 v[1:4], off, off offset:272 th:TH_LOAD_LU ; 16-byte Folded Reload
	s_wait_loadcnt 0x0
	v_mul_f32_e32 v0, v4, v20
	v_mul_f32_e32 v78, v4, v21
	v_mul_f32_e32 v80, v2, v13
	s_delay_alu instid0(VALU_DEP_3) | instskip(SKIP_1) | instid1(VALU_DEP_4)
	v_fma_f32 v79, v3, v21, -v0
	v_mul_f32_e32 v0, v2, v12
	v_fmac_f32_e32 v78, v3, v20
	s_delay_alu instid0(VALU_DEP_4) | instskip(NEXT) | instid1(VALU_DEP_3)
	v_fmac_f32_e32 v80, v1, v12
	v_fma_f32 v81, v1, v13, -v0
	s_clause 0x1
	scratch_load_b128 v[1:4], off, off offset:256 th:TH_LOAD_LU
	scratch_load_b128 v[12:15], off, off offset:240 th:TH_LOAD_LU
	s_wait_loadcnt 0x1
	v_mul_f32_e32 v82, v2, v11
	v_mul_f32_e32 v0, v2, v10
	s_delay_alu instid0(VALU_DEP_2) | instskip(NEXT) | instid1(VALU_DEP_2)
	v_fmac_f32_e32 v82, v1, v10
	v_fma_f32 v83, v1, v11, -v0
	ds_load_2addr_b64 v[8:11], v199 offset0:110 offset1:173
	s_wait_dscnt 0x0
	v_mul_f32_e32 v84, v4, v11
	v_mul_f32_e32 v0, v4, v10
	s_delay_alu instid0(VALU_DEP_2) | instskip(NEXT) | instid1(VALU_DEP_2)
	v_fmac_f32_e32 v84, v3, v10
	v_fma_f32 v85, v3, v11, -v0
	ds_load_2addr_b64 v[2:5], v242 offset0:120 offset1:183
	s_wait_loadcnt 0x0
	v_mul_f32_e32 v10, v15, v9
	v_mul_f32_e32 v0, v15, v8
	s_delay_alu instid0(VALU_DEP_2) | instskip(NEXT) | instid1(VALU_DEP_2)
	v_fmac_f32_e32 v10, v14, v8
	v_fma_f32 v0, v14, v9, -v0
	ds_load_2addr_b64 v[6:9], v255 offset1:63
	s_wait_dscnt 0x1
	v_mul_f32_e32 v1, v13, v4
	v_mul_f32_e32 v11, v13, v5
	s_delay_alu instid0(VALU_DEP_2) | instskip(SKIP_1) | instid1(VALU_DEP_1)
	v_fma_f32 v1, v12, v5, -v1
	s_wait_dscnt 0x0
	v_dual_fmac_f32 v11, v12, v4 :: v_dual_add_f32 v4, v7, v1
	v_add_f32_e32 v5, v1, v0
	s_delay_alu instid0(VALU_DEP_2) | instskip(NEXT) | instid1(VALU_DEP_3)
	v_dual_sub_f32 v86, v1, v0 :: v_dual_sub_f32 v87, v11, v10
	v_dual_add_f32 v1, v4, v0 :: v_dual_add_f32 v4, v11, v10
	v_add_f32_e32 v0, v6, v11
	s_delay_alu instid0(VALU_DEP_4) | instskip(NEXT) | instid1(VALU_DEP_3)
	v_fma_f32 v15, -0.5, v5, v7
	v_fma_f32 v14, -0.5, v4, v6
	s_delay_alu instid0(VALU_DEP_3) | instskip(NEXT) | instid1(VALU_DEP_3)
	v_add_f32_e32 v0, v0, v10
	v_fmamk_f32 v34, v87, 0x3f5db3d7, v15
	v_fmac_f32_e32 v15, 0xbf5db3d7, v87
	ds_load_2addr_b64 v[10:13], v243 offset0:124 offset1:187
	ds_load_2addr_b64 v[20:23], v255 offset0:126 offset1:189
	;; [unrolled: 1-line block ×3, first 2 shown]
	v_fmamk_f32 v33, v86, 0xbf5db3d7, v14
	v_fmac_f32_e32 v14, 0x3f5db3d7, v86
	global_wb scope:SCOPE_SE
	s_wait_dscnt 0x0
	s_barrier_signal -1
	s_barrier_wait -1
	global_inv scope:SCOPE_SE
	ds_store_2addr_b64 v255, v[0:1], v[33:34] offset1:81
	ds_store_b64 v255, v[14:15] offset:1296
	v_add_f32_e32 v0, v82, v84
	v_add_f32_e32 v14, v8, v82
	v_sub_f32_e32 v34, v82, v84
	scratch_load_b32 v82, off, off offset:292 th:TH_LOAD_LU ; 4-byte Folded Reload
	v_add_f32_e32 v15, v83, v85
	v_fma_f32 v8, -0.5, v0, v8
	v_dual_add_f32 v0, v9, v83 :: v_dual_sub_f32 v33, v83, v85
	s_delay_alu instid0(VALU_DEP_3) | instskip(NEXT) | instid1(VALU_DEP_2)
	v_fmac_f32_e32 v9, -0.5, v15
	v_dual_add_f32 v1, v0, v85 :: v_dual_add_f32 v0, v14, v84
	s_delay_alu instid0(VALU_DEP_3) | instskip(NEXT) | instid1(VALU_DEP_3)
	v_fmamk_f32 v14, v33, 0xbf5db3d7, v8
	v_dual_fmamk_f32 v15, v34, 0x3f5db3d7, v9 :: v_dual_fmac_f32 v8, 0x3f5db3d7, v33
	v_fmac_f32_e32 v9, 0xbf5db3d7, v34
	v_sub_f32_e32 v33, v81, v79
	s_wait_loadcnt 0x0
	ds_store_b64 v82, v[8:9] offset:1296
	v_add_f32_e32 v9, v81, v79
	ds_store_2addr_b64 v82, v[0:1], v[14:15] offset1:81
	v_add_f32_e32 v0, v21, v81
	v_add_f32_e32 v8, v80, v78
	v_fma_f32 v9, -0.5, v9, v21
	scratch_load_b32 v21, off, off offset:296 th:TH_LOAD_LU ; 4-byte Folded Reload
	v_add_f32_e32 v1, v0, v79
	v_add_f32_e32 v0, v20, v80
	v_fma_f32 v8, -0.5, v8, v20
	v_sub_f32_e32 v20, v80, v78
	s_delay_alu instid0(VALU_DEP_3) | instskip(NEXT) | instid1(VALU_DEP_3)
	v_add_f32_e32 v0, v0, v78
	v_fmamk_f32 v14, v33, 0xbf5db3d7, v8
	s_delay_alu instid0(VALU_DEP_3)
	v_fmamk_f32 v15, v20, 0x3f5db3d7, v9
	v_fmac_f32_e32 v9, 0xbf5db3d7, v20
	scratch_load_b32 v20, off, off offset:300 th:TH_LOAD_LU ; 4-byte Folded Reload
	v_fmac_f32_e32 v8, 0x3f5db3d7, v33
	s_wait_loadcnt 0x1
	ds_store_2addr_b64 v21, v[0:1], v[14:15] offset1:81
	ds_store_b64 v21, v[8:9] offset:1296
	scratch_load_b32 v21, off, off offset:320 th:TH_LOAD_LU ; 4-byte Folded Reload
	v_dual_add_f32 v0, v36, v76 :: v_dual_add_f32 v9, v73, v77
	v_add_f32_e32 v8, v22, v36
	v_dual_sub_f32 v14, v73, v77 :: v_dual_sub_f32 v15, v36, v76
	s_delay_alu instid0(VALU_DEP_3) | instskip(SKIP_2) | instid1(VALU_DEP_2)
	v_fma_f32 v22, -0.5, v0, v22
	v_add_f32_e32 v0, v23, v73
	v_fmac_f32_e32 v23, -0.5, v9
	v_add_f32_e32 v1, v0, v77
	v_add_f32_e32 v0, v8, v76
	v_fmamk_f32 v8, v14, 0xbf5db3d7, v22
	s_delay_alu instid0(VALU_DEP_4)
	v_dual_fmamk_f32 v9, v15, 0x3f5db3d7, v23 :: v_dual_fmac_f32 v22, 0x3f5db3d7, v14
	v_dual_fmac_f32 v23, 0xbf5db3d7, v15 :: v_dual_sub_f32 v14, v35, v45
	v_sub_f32_e32 v15, v72, v39
	s_wait_loadcnt 0x1
	ds_store_2addr_b64 v20, v[0:1], v[8:9] offset1:81
	v_add_f32_e32 v0, v11, v35
	v_dual_add_f32 v9, v35, v45 :: v_dual_add_f32 v8, v72, v39
	ds_store_b64 v20, v[22:23] offset:1296
	v_dual_sub_f32 v22, v66, v64 :: v_dual_add_f32 v1, v0, v45
	v_add_f32_e32 v0, v10, v72
	v_fma_f32 v8, -0.5, v8, v10
	v_fma_f32 v9, -0.5, v9, v11
	s_delay_alu instid0(VALU_DEP_3) | instskip(NEXT) | instid1(VALU_DEP_3)
	v_add_f32_e32 v0, v0, v39
	v_fmamk_f32 v10, v14, 0xbf5db3d7, v8
	s_delay_alu instid0(VALU_DEP_3)
	v_dual_fmamk_f32 v11, v15, 0x3f5db3d7, v9 :: v_dual_fmac_f32 v8, 0x3f5db3d7, v14
	v_dual_fmac_f32 v9, 0xbf5db3d7, v15 :: v_dual_sub_f32 v14, v68, v70
	s_wait_loadcnt 0x0
	v_dual_add_f32 v15, v66, v64 :: v_dual_add_nc_u32 v20, 0x1400, v21
	ds_store_b64 v21, v[8:9] offset:7128
	v_dual_add_f32 v8, v12, v47 :: v_dual_add_f32 v21, v2, v65
	ds_store_2addr_b64 v20, v[0:1], v[10:11] offset0:89 offset1:170
	v_dual_add_f32 v0, v47, v44 :: v_dual_add_f32 v1, v13, v37
	v_dual_sub_f32 v11, v47, v44 :: v_dual_sub_f32 v10, v37, v38
	v_sub_f32_e32 v20, v67, v69
	s_delay_alu instid0(VALU_DEP_3) | instskip(SKIP_2) | instid1(VALU_DEP_2)
	v_fma_f32 v12, -0.5, v0, v12
	v_add_f32_e32 v0, v37, v38
	v_add_f32_e32 v1, v1, v38
	v_fmac_f32_e32 v13, -0.5, v0
	v_add_f32_e32 v0, v8, v44
	v_fmamk_f32 v8, v10, 0xbf5db3d7, v12
	v_fmac_f32_e32 v12, 0x3f5db3d7, v10
	v_add_f32_e32 v10, v75, v71
	v_fmamk_f32 v9, v11, 0x3f5db3d7, v13
	v_fmac_f32_e32 v13, 0xbf5db3d7, v11
	scratch_load_b32 v11, off, off offset:344 th:TH_LOAD_LU ; 4-byte Folded Reload
	s_wait_loadcnt 0x0
	ds_store_2addr_b64 v11, v[0:1], v[8:9] offset1:81
	ds_store_b64 v11, v[12:13] offset:1296
	v_add_f32_e32 v1, v4, v75
	v_fma_f32 v4, -0.5, v10, v4
	v_sub_f32_e32 v9, v46, v74
	v_add_f32_e32 v11, v68, v70
	v_add_f32_e32 v0, v46, v74
	;; [unrolled: 1-line block ×3, first 2 shown]
	v_sub_f32_e32 v10, v75, v71
	v_fmamk_f32 v12, v9, 0xbf5db3d7, v4
	v_dual_fmac_f32 v4, 0x3f5db3d7, v9 :: v_dual_add_f32 v9, v7, v68
	v_fmac_f32_e32 v7, -0.5, v11
	v_add_f32_e32 v11, v65, v32
	v_fma_f32 v5, -0.5, v0, v5
	v_dual_add_f32 v0, v1, v71 :: v_dual_add_f32 v1, v8, v74
	v_add_f32_e32 v8, v67, v69
	s_delay_alu instid0(VALU_DEP_4)
	v_fma_f32 v2, -0.5, v11, v2
	v_fmamk_f32 v11, v20, 0x3f5db3d7, v7
	v_fmac_f32_e32 v7, 0xbf5db3d7, v20
	scratch_load_b32 v20, off, off offset:288 th:TH_LOAD_LU ; 4-byte Folded Reload
	v_fmamk_f32 v13, v10, 0x3f5db3d7, v5
	v_dual_fmac_f32 v5, 0xbf5db3d7, v10 :: v_dual_add_f32 v10, v6, v67
	v_fma_f32 v6, -0.5, v8, v6
	s_delay_alu instid0(VALU_DEP_2) | instskip(NEXT) | instid1(VALU_DEP_2)
	v_dual_add_f32 v9, v9, v70 :: v_dual_add_f32 v8, v10, v69
	v_fmamk_f32 v10, v14, 0xbf5db3d7, v6
	v_fmac_f32_e32 v6, 0x3f5db3d7, v14
	v_dual_add_f32 v14, v3, v66 :: v_dual_fmac_f32 v3, -0.5, v15
	s_delay_alu instid0(VALU_DEP_1)
	v_add_f32_e32 v15, v14, v64
	v_add_f32_e32 v14, v21, v32
	v_sub_f32_e32 v21, v65, v32
	s_wait_loadcnt 0x0
	ds_store_2addr_b64 v20, v[0:1], v[12:13] offset1:81
	scratch_load_b32 v13, off, off offset:348 th:TH_LOAD_LU ; 4-byte Folded Reload
	ds_store_b64 v20, v[4:5] offset:1296
	scratch_load_b32 v4, off, off offset:352 th:TH_LOAD_LU ; 4-byte Folded Reload
	v_fmamk_f32 v0, v22, 0xbf5db3d7, v2
	v_dual_fmamk_f32 v1, v21, 0x3f5db3d7, v3 :: v_dual_fmac_f32 v2, 0x3f5db3d7, v22
	v_fmac_f32_e32 v3, 0xbf5db3d7, v21
	s_wait_loadcnt 0x1
	v_add_nc_u32_e32 v12, 0x2c00, v13
	s_wait_loadcnt 0x0
	ds_store_2addr_b64 v4, v[8:9], v[10:11] offset1:81
	ds_store_b64 v4, v[6:7] offset:1296
	ds_store_2addr_b64 v12, v[14:15], v[0:1] offset0:50 offset1:131
	ds_store_b64 v13, v[2:3] offset:12960
	global_wb scope:SCOPE_SE
	s_wait_dscnt 0x0
	s_barrier_signal -1
	s_barrier_wait -1
	global_inv scope:SCOPE_SE
	ds_load_2addr_b64 v[80:83], v242 offset0:102 offset1:165
	ds_load_2addr_b64 v[36:39], v201 offset0:100 offset1:217
	ds_load_b64 v[4:5], v255 offset:12672
	ds_load_2addr_b64 v[84:87], v241 offset0:76 offset1:139
	ds_load_2addr_b64 v[44:47], v199 offset0:74 offset1:191
	;; [unrolled: 1-line block ×4, first 2 shown]
	ds_load_2addr_b64 v[32:35], v255 offset1:63
	ds_load_2addr_b64 v[20:23], v255 offset0:126 offset1:243
	ds_load_2addr_b64 v[76:79], v198 offset0:50 offset1:113
	;; [unrolled: 1-line block ×3, first 2 shown]
	s_and_saveexec_b32 s0, vcc_lo
	s_cbranch_execz .LBB0_7
; %bb.6:
	v_add_nc_u32_e32 v6, 0x1500, v255
	ds_load_2addr_b64 v[0:3], v200 offset0:9 offset1:252
	ds_load_2addr_b64 v[12:15], v6 offset0:3 offset1:246
	ds_load_b64 v[7:8], v255 offset:13176
	v_add_nc_u32_e32 v6, 0x5c0, v255
	s_wait_dscnt 0x0
	scratch_store_b64 off, v[7:8], off offset:4 ; 8-byte Folded Spill
	v_mov_b32_e32 v7, v13
	ds_load_2addr_b64 v[8:11], v6 offset0:5 offset1:248
	v_mov_b32_e32 v6, v12
.LBB0_7:
	s_wait_alu 0xfffe
	s_or_b32 exec_lo, exec_lo, s0
	s_wait_dscnt 0x2
	v_mul_f32_e32 v12, v17, v23
	v_mul_f32_e32 v13, v17, v22
	;; [unrolled: 1-line block ×3, first 2 shown]
	v_dual_mul_f32 v19, v19, v80 :: v_dual_mul_f32 v88, v49, v39
	s_delay_alu instid0(VALU_DEP_4) | instskip(SKIP_2) | instid1(VALU_DEP_4)
	v_fmac_f32_e32 v12, v16, v22
	v_mul_f32_e32 v22, v49, v38
	v_fma_f32 v13, v16, v23, -v13
	v_fma_f32 v16, v18, v81, -v19
	v_dual_mul_f32 v19, v51, v85 :: v_dual_fmac_f32 v88, v48, v38
	v_mul_f32_e32 v23, v53, v47
	v_dual_mul_f32 v38, v53, v46 :: v_dual_fmac_f32 v17, v18, v80
	v_fma_f32 v18, v48, v39, -v22
	v_mul_f32_e32 v39, v55, v73
	v_dual_fmac_f32 v19, v50, v84 :: v_dual_mul_f32 v48, v31, v83
	v_dual_fmac_f32 v23, v52, v46 :: v_dual_mul_f32 v46, v55, v72
	v_fma_f32 v38, v52, v47, -v38
	s_wait_dscnt 0x1
	s_delay_alu instid0(VALU_DEP_3)
	v_dual_mul_f32 v47, v29, v77 :: v_dual_fmac_f32 v48, v30, v82
	v_mul_f32_e32 v29, v29, v76
	v_mul_f32_e32 v31, v31, v82
	s_wait_dscnt 0x0
	v_dual_mul_f32 v49, v25, v65 :: v_dual_mul_f32 v22, v51, v84
	v_fmac_f32_e32 v39, v54, v72
	v_fma_f32 v46, v54, v73, -v46
	v_fmac_f32_e32 v47, v28, v76
	v_fma_f32 v28, v28, v77, -v29
	v_fma_f32 v29, v30, v83, -v31
	v_mul_f32_e32 v30, v41, v69
	v_mul_f32_e32 v31, v41, v68
	v_dual_fmac_f32 v49, v24, v64 :: v_dual_mul_f32 v54, v61, v71
	v_mul_f32_e32 v41, v43, v87
	v_mul_f32_e32 v43, v43, v86
	;; [unrolled: 1-line block ×3, first 2 shown]
	v_fma_f32 v22, v50, v85, -v22
	v_fmac_f32_e32 v30, v40, v68
	v_fma_f32 v31, v40, v69, -v31
	v_fma_f32 v40, v42, v87, -v43
	v_mul_f32_e32 v43, v57, v79
	v_mul_f32_e32 v50, v57, v78
	v_fma_f32 v51, v24, v65, -v25
	v_mul_f32_e32 v24, v59, v36
	v_mul_f32_e32 v55, v63, v45
	v_fmac_f32_e32 v43, v56, v78
	v_fma_f32 v50, v56, v79, -v50
	v_fmac_f32_e32 v54, v60, v70
	v_fmac_f32_e32 v41, v42, v86
	v_fma_f32 v56, v58, v37, -v24
	v_mul_f32_e32 v24, v63, v44
	v_dual_mul_f32 v42, v27, v75 :: v_dual_mul_f32 v25, v61, v70
	s_delay_alu instid0(VALU_DEP_2)
	v_fma_f32 v45, v62, v45, -v24
	v_add_f32_e32 v24, v17, v23
	v_sub_f32_e32 v17, v17, v23
	v_add_f32_e32 v23, v88, v19
	v_dual_fmac_f32 v55, v62, v44 :: v_dual_mul_f32 v44, v189, v67
	v_dual_mul_f32 v53, v59, v37 :: v_dual_fmac_f32 v42, v26, v74
	s_delay_alu instid0(VALU_DEP_1) | instskip(SKIP_1) | instid1(VALU_DEP_1)
	v_dual_fmac_f32 v44, v188, v66 :: v_dual_fmac_f32 v53, v58, v36
	v_mul_f32_e32 v58, v191, v5
	v_dual_mul_f32 v27, v27, v74 :: v_dual_fmac_f32 v58, v190, v4
	s_delay_alu instid0(VALU_DEP_1) | instskip(SKIP_4) | instid1(VALU_DEP_4)
	v_fma_f32 v52, v26, v75, -v27
	v_mul_f32_e32 v26, v191, v4
	v_add_f32_e32 v4, v12, v39
	v_fma_f32 v57, v60, v71, -v25
	v_dual_mul_f32 v25, v189, v66 :: v_dual_sub_f32 v12, v12, v39
	v_fma_f32 v60, v190, v5, -v26
	s_delay_alu instid0(VALU_DEP_4)
	v_dual_add_f32 v5, v13, v46 :: v_dual_sub_f32 v36, v24, v4
	v_add_f32_e32 v26, v18, v22
	v_sub_f32_e32 v18, v22, v18
	v_dual_sub_f32 v13, v13, v46 :: v_dual_add_f32 v22, v24, v4
	v_sub_f32_e32 v24, v23, v24
	v_fma_f32 v59, v188, v67, -v25
	v_sub_f32_e32 v19, v19, v88
	v_add_f32_e32 v25, v16, v38
	v_sub_f32_e32 v16, v16, v38
	v_sub_f32_e32 v38, v4, v23
	v_add_f32_e32 v22, v23, v22
	v_add_f32_e32 v4, v19, v17
	;; [unrolled: 1-line block ×3, first 2 shown]
	v_sub_f32_e32 v37, v25, v5
	v_sub_f32_e32 v39, v5, v26
	;; [unrolled: 1-line block ×3, first 2 shown]
	v_add_f32_e32 v5, v18, v16
	v_dual_sub_f32 v61, v18, v16 :: v_dual_sub_f32 v18, v13, v18
	v_dual_sub_f32 v46, v19, v17 :: v_dual_sub_f32 v19, v12, v19
	v_sub_f32_e32 v17, v17, v12
	v_dual_add_f32 v23, v26, v27 :: v_dual_add_f32 v12, v4, v12
	v_add_f32_e32 v4, v32, v22
	v_mul_f32_e32 v26, 0x3f4a47b2, v38
	v_mul_f32_e32 v32, 0x3d64c772, v24
	v_sub_f32_e32 v16, v16, v13
	s_delay_alu instid0(VALU_DEP_4)
	v_dual_add_f32 v13, v5, v13 :: v_dual_fmamk_f32 v22, v22, 0xbf955555, v4
	v_mul_f32_e32 v38, 0x3f08b237, v46
	v_dual_mul_f32 v46, 0xbf5ff5aa, v17 :: v_dual_add_f32 v5, v33, v23
	v_fmamk_f32 v24, v24, 0x3d64c772, v26
	v_mul_f32_e32 v27, 0x3f4a47b2, v39
	v_fma_f32 v32, 0x3f3bfb3b, v36, -v32
	v_mul_f32_e32 v33, 0x3d64c772, v25
	v_fma_f32 v26, 0xbf3bfb3b, v36, -v26
	v_dual_mul_f32 v39, 0x3f08b237, v61 :: v_dual_add_f32 v62, v24, v22
	s_delay_alu instid0(VALU_DEP_4) | instskip(NEXT) | instid1(VALU_DEP_4)
	v_dual_add_f32 v24, v32, v22 :: v_dual_fmamk_f32 v25, v25, 0x3d64c772, v27
	v_fma_f32 v33, 0x3f3bfb3b, v37, -v33
	v_fma_f32 v27, 0xbf3bfb3b, v37, -v27
	v_add_f32_e32 v26, v26, v22
	v_dual_fmamk_f32 v36, v19, 0xbeae86e6, v38 :: v_dual_fmamk_f32 v37, v18, 0xbeae86e6, v39
	v_fma_f32 v38, 0xbf5ff5aa, v17, -v38
	v_fma_f32 v46, 0x3eae86e6, v19, -v46
	;; [unrolled: 1-line block ×3, first 2 shown]
	s_delay_alu instid0(VALU_DEP_4) | instskip(SKIP_2) | instid1(VALU_DEP_4)
	v_dual_fmac_f32 v36, 0xbee1c552, v12 :: v_dual_fmac_f32 v37, 0xbee1c552, v13
	v_mul_f32_e32 v61, 0xbf5ff5aa, v16
	v_fmac_f32_e32 v38, 0xbee1c552, v12
	v_dual_fmac_f32 v46, 0xbee1c552, v12 :: v_dual_fmac_f32 v39, 0xbee1c552, v13
	s_delay_alu instid0(VALU_DEP_4) | instskip(NEXT) | instid1(VALU_DEP_4)
	v_add_f32_e32 v12, v37, v62
	v_fma_f32 v61, 0x3eae86e6, v18, -v61
	v_add_f32_e32 v32, v47, v42
	s_delay_alu instid0(VALU_DEP_4) | instskip(NEXT) | instid1(VALU_DEP_3)
	v_sub_f32_e32 v18, v24, v39
	v_dual_add_f32 v22, v39, v24 :: v_dual_fmac_f32 v61, 0xbee1c552, v13
	s_delay_alu instid0(VALU_DEP_1) | instskip(NEXT) | instid1(VALU_DEP_1)
	v_dual_fmamk_f32 v23, v23, 0xbf955555, v5 :: v_dual_add_f32 v16, v61, v26
	v_add_f32_e32 v63, v25, v23
	v_dual_add_f32 v25, v33, v23 :: v_dual_sub_f32 v24, v26, v61
	v_dual_add_f32 v27, v27, v23 :: v_dual_sub_f32 v26, v62, v37
	s_delay_alu instid0(VALU_DEP_3) | instskip(NEXT) | instid1(VALU_DEP_3)
	v_sub_f32_e32 v13, v63, v36
	v_add_f32_e32 v19, v38, v25
	v_sub_f32_e32 v23, v25, v38
	s_delay_alu instid0(VALU_DEP_4)
	v_sub_f32_e32 v17, v27, v46
	v_add_f32_e32 v25, v46, v27
	v_dual_add_f32 v27, v36, v63 :: v_dual_add_f32 v46, v31, v40
	v_dual_add_f32 v33, v28, v52 :: v_dual_add_f32 v38, v29, v51
	v_dual_add_f32 v37, v48, v49 :: v_dual_sub_f32 v36, v47, v42
	v_sub_f32_e32 v28, v28, v52
	v_sub_f32_e32 v39, v48, v49
	v_add_f32_e32 v42, v30, v41
	v_sub_f32_e32 v30, v41, v30
	v_dual_sub_f32 v29, v29, v51 :: v_dual_sub_f32 v48, v38, v33
	v_sub_f32_e32 v31, v40, v31
	v_add_f32_e32 v41, v38, v33
	v_sub_f32_e32 v38, v46, v38
	v_add_f32_e32 v40, v37, v32
	v_dual_sub_f32 v47, v37, v32 :: v_dual_sub_f32 v52, v30, v39
	v_dual_sub_f32 v32, v32, v42 :: v_dual_sub_f32 v37, v42, v37
	v_add_f32_e32 v49, v30, v39
	s_delay_alu instid0(VALU_DEP_4)
	v_add_f32_e32 v40, v42, v40
	v_dual_sub_f32 v42, v29, v28 :: v_dual_add_f32 v51, v31, v29
	v_dual_sub_f32 v61, v31, v29 :: v_dual_sub_f32 v30, v36, v30
	v_dual_sub_f32 v31, v28, v31 :: v_dual_mul_f32 v32, 0x3f4a47b2, v32
	v_sub_f32_e32 v39, v39, v36
	v_dual_add_f32 v41, v46, v41 :: v_dual_add_f32 v36, v49, v36
	v_dual_sub_f32 v33, v33, v46 :: v_dual_add_f32 v46, v51, v28
	v_add_f32_e32 v28, v34, v40
	v_mul_f32_e32 v34, 0x3d64c772, v37
	v_mul_f32_e32 v49, 0x3f08b237, v52
	v_dual_mul_f32 v52, 0xbf5ff5aa, v39 :: v_dual_add_f32 v29, v35, v41
	s_delay_alu instid0(VALU_DEP_4)
	v_fmamk_f32 v40, v40, 0xbf955555, v28
	v_fmamk_f32 v37, v37, 0x3d64c772, v32
	v_mul_f32_e32 v33, 0x3f4a47b2, v33
	v_fma_f32 v34, 0x3f3bfb3b, v47, -v34
	v_fma_f32 v32, 0xbf3bfb3b, v47, -v32
	v_mul_f32_e32 v51, 0x3f08b237, v61
	v_fmamk_f32 v47, v30, 0xbeae86e6, v49
	v_fma_f32 v39, 0xbf5ff5aa, v39, -v49
	v_fma_f32 v49, 0x3eae86e6, v30, -v52
	v_dual_add_f32 v52, v37, v40 :: v_dual_mul_f32 v35, 0x3d64c772, v38
	v_fmamk_f32 v38, v38, 0x3d64c772, v33
	v_fma_f32 v33, 0xbf3bfb3b, v48, -v33
	v_add_f32_e32 v37, v34, v40
	v_add_f32_e32 v40, v32, v40
	v_fma_f32 v35, 0x3f3bfb3b, v48, -v35
	v_fmamk_f32 v48, v31, 0xbeae86e6, v51
	v_fmac_f32_e32 v39, 0xbee1c552, v36
	s_delay_alu instid0(VALU_DEP_2) | instskip(SKIP_2) | instid1(VALU_DEP_3)
	v_dual_fmac_f32 v49, 0xbee1c552, v36 :: v_dual_fmac_f32 v48, 0xbee1c552, v46
	v_mul_f32_e32 v61, 0xbf5ff5aa, v42
	v_fma_f32 v42, 0xbf5ff5aa, v42, -v51
	v_add_f32_e32 v30, v48, v52
	s_delay_alu instid0(VALU_DEP_3) | instskip(NEXT) | instid1(VALU_DEP_3)
	v_fma_f32 v51, 0x3eae86e6, v31, -v61
	v_fmac_f32_e32 v42, 0xbee1c552, v46
	s_delay_alu instid0(VALU_DEP_2) | instskip(SKIP_1) | instid1(VALU_DEP_3)
	v_fmac_f32_e32 v51, 0xbee1c552, v46
	v_fmamk_f32 v41, v41, 0xbf955555, v29
	v_dual_sub_f32 v34, v37, v42 :: v_dual_fmac_f32 v47, 0xbee1c552, v36
	v_add_f32_e32 v36, v42, v37
	s_delay_alu instid0(VALU_DEP_3) | instskip(SKIP_2) | instid1(VALU_DEP_3)
	v_dual_add_f32 v32, v51, v40 :: v_dual_add_f32 v61, v38, v41
	v_add_f32_e32 v38, v35, v41
	v_dual_add_f32 v41, v33, v41 :: v_dual_add_f32 v42, v43, v58
	v_dual_add_f32 v46, v50, v60 :: v_dual_sub_f32 v31, v61, v47
	s_delay_alu instid0(VALU_DEP_3)
	v_add_f32_e32 v35, v39, v38
	v_sub_f32_e32 v37, v38, v39
	v_sub_f32_e32 v38, v40, v51
	v_dual_sub_f32 v40, v52, v48 :: v_dual_sub_f32 v43, v43, v58
	v_add_f32_e32 v52, v57, v45
	v_add_f32_e32 v48, v53, v44
	v_sub_f32_e32 v33, v41, v49
	v_add_f32_e32 v39, v49, v41
	v_dual_add_f32 v49, v56, v59 :: v_dual_sub_f32 v44, v53, v44
	v_sub_f32_e32 v53, v55, v54
	v_add_f32_e32 v51, v54, v55
	v_sub_f32_e32 v45, v45, v57
	s_delay_alu instid0(VALU_DEP_4) | instskip(SKIP_3) | instid1(VALU_DEP_4)
	v_add_f32_e32 v55, v49, v46
	v_add_f32_e32 v54, v48, v42
	v_dual_sub_f32 v57, v49, v46 :: v_dual_sub_f32 v46, v46, v52
	v_sub_f32_e32 v49, v52, v49
	v_add_f32_e32 v52, v52, v55
	v_dual_add_f32 v58, v53, v44 :: v_dual_add_f32 v41, v47, v61
	v_dual_sub_f32 v47, v50, v60 :: v_dual_sub_f32 v50, v56, v59
	v_sub_f32_e32 v56, v48, v42
	v_sub_f32_e32 v42, v42, v51
	;; [unrolled: 1-line block ×4, first 2 shown]
	v_dual_sub_f32 v44, v44, v43 :: v_dual_add_f32 v59, v45, v50
	s_delay_alu instid0(VALU_DEP_4)
	v_dual_sub_f32 v53, v43, v53 :: v_dual_mul_f32 v42, 0x3f4a47b2, v42
	v_add_f32_e32 v51, v51, v54
	v_sub_f32_e32 v61, v45, v50
	v_dual_sub_f32 v45, v47, v45 :: v_dual_mul_f32 v46, 0x3f4a47b2, v46
	v_sub_f32_e32 v50, v50, v47
	v_dual_mul_f32 v54, 0x3d64c772, v48 :: v_dual_add_f32 v47, v59, v47
	v_dual_fmamk_f32 v48, v48, 0x3d64c772, v42 :: v_dual_add_f32 v21, v21, v52
	v_dual_add_f32 v43, v58, v43 :: v_dual_mul_f32 v58, 0x3f08b237, v60
	v_mul_f32_e32 v60, 0xbf5ff5aa, v44
	v_add_f32_e32 v20, v20, v51
	v_fma_f32 v54, 0x3f3bfb3b, v56, -v54
	v_fma_f32 v42, 0xbf3bfb3b, v56, -v42
	v_fmamk_f32 v56, v53, 0xbeae86e6, v58
	v_fma_f32 v53, 0x3eae86e6, v53, -v60
	v_fmamk_f32 v51, v51, 0xbf955555, v20
	v_mul_f32_e32 v55, 0x3d64c772, v49
	v_fma_f32 v58, 0xbf5ff5aa, v44, -v58
	s_delay_alu instid0(VALU_DEP_3)
	v_add_f32_e32 v60, v48, v51
	v_add_f32_e32 v48, v54, v51
	v_dual_fmamk_f32 v52, v52, 0xbf955555, v21 :: v_dual_add_f32 v51, v42, v51
	v_fmamk_f32 v49, v49, 0x3d64c772, v46
	v_fma_f32 v46, 0xbf3bfb3b, v57, -v46
	v_mul_f32_e32 v59, 0x3f08b237, v61
	v_fma_f32 v55, 0x3f3bfb3b, v57, -v55
	v_fmac_f32_e32 v53, 0xbee1c552, v43
	s_delay_alu instid0(VALU_DEP_3) | instskip(NEXT) | instid1(VALU_DEP_1)
	v_fmamk_f32 v57, v45, 0xbeae86e6, v59
	v_fmac_f32_e32 v57, 0xbee1c552, v47
	v_mul_f32_e32 v61, 0xbf5ff5aa, v50
	v_fma_f32 v50, 0xbf5ff5aa, v50, -v59
	s_delay_alu instid0(VALU_DEP_3) | instskip(NEXT) | instid1(VALU_DEP_3)
	v_add_f32_e32 v42, v57, v60
	v_fma_f32 v59, 0x3eae86e6, v45, -v61
	s_delay_alu instid0(VALU_DEP_1) | instskip(NEXT) | instid1(VALU_DEP_1)
	v_fmac_f32_e32 v59, 0xbee1c552, v47
	v_dual_add_f32 v44, v59, v51 :: v_dual_add_f32 v61, v49, v52
	v_dual_add_f32 v49, v55, v52 :: v_dual_fmac_f32 v56, 0xbee1c552, v43
	v_add_f32_e32 v52, v46, v52
	v_fmac_f32_e32 v58, 0xbee1c552, v43
	s_delay_alu instid0(VALU_DEP_3) | instskip(NEXT) | instid1(VALU_DEP_3)
	v_dual_fmac_f32 v50, 0xbee1c552, v47 :: v_dual_sub_f32 v43, v61, v56
	v_sub_f32_e32 v45, v52, v53
	s_delay_alu instid0(VALU_DEP_2)
	v_dual_add_f32 v47, v58, v49 :: v_dual_sub_f32 v46, v48, v50
	v_add_f32_e32 v48, v50, v48
	v_dual_sub_f32 v50, v51, v59 :: v_dual_sub_f32 v49, v49, v58
	v_dual_add_f32 v51, v53, v52 :: v_dual_sub_f32 v52, v60, v57
	v_add_f32_e32 v53, v56, v61
	ds_store_b64 v255, v[12:13] offset:1944
	ds_store_b64 v255, v[16:17] offset:3888
	;; [unrolled: 1-line block ×6, first 2 shown]
	ds_store_2addr_b64 v255, v[4:5], v[28:29] offset1:63
	ds_store_b64 v255, v[34:35] offset:6336
	ds_store_b64 v255, v[36:37] offset:8280
	;; [unrolled: 1-line block ×6, first 2 shown]
	ds_store_2addr_b64 v198, v[30:31], v[42:43] offset0:50 offset1:113
	ds_store_b64 v255, v[44:45] offset:4896
	ds_store_b64 v255, v[46:47] offset:6840
	;; [unrolled: 1-line block ×5, first 2 shown]
	s_and_saveexec_b32 s0, vcc_lo
	s_cbranch_execz .LBB0_9
; %bb.8:
	s_clause 0x1
	scratch_load_b128 v[24:27], off, off offset:484 th:TH_LOAD_LU
	scratch_load_b64 v[22:23], off, off offset:4 th:TH_LOAD_LU
	v_dual_mul_f32 v5, v183, v1 :: v_dual_mul_f32 v12, v181, v15
	s_delay_alu instid0(VALU_DEP_1) | instskip(NEXT) | instid1(VALU_DEP_1)
	v_dual_fmac_f32 v5, v182, v0 :: v_dual_fmac_f32 v12, v180, v14
	v_dual_sub_f32 v18, v5, v12 :: v_dual_add_f32 v5, v12, v5
	s_wait_loadcnt 0x1
	v_mul_f32_e32 v4, v25, v11
	v_mul_f32_e32 v13, v27, v7
	s_delay_alu instid0(VALU_DEP_1) | instskip(SKIP_1) | instid1(VALU_DEP_1)
	v_dual_mul_f32 v16, v185, v3 :: v_dual_fmac_f32 v13, v26, v6
	s_wait_loadcnt 0x0
	v_dual_mul_f32 v17, v187, v23 :: v_dual_fmac_f32 v16, v184, v2
	v_fmac_f32_e32 v4, v24, v10
	v_mul_f32_e32 v2, v185, v2
	v_mul_f32_e32 v6, v27, v6
	s_delay_alu instid0(VALU_DEP_4) | instskip(SKIP_3) | instid1(VALU_DEP_3)
	v_fmac_f32_e32 v17, v186, v22
	v_dual_sub_f32 v19, v13, v16 :: v_dual_mul_f32 v20, v187, v22
	v_add_f32_e32 v13, v16, v13
	v_fma_f32 v2, v184, v3, -v2
	v_dual_sub_f32 v21, v4, v17 :: v_dual_sub_f32 v22, v18, v19
	s_delay_alu instid0(VALU_DEP_4) | instskip(SKIP_2) | instid1(VALU_DEP_4)
	v_fma_f32 v20, v186, v23, -v20
	v_mul_f32_e32 v0, v183, v0
	v_fma_f32 v3, v26, v7, -v6
	v_dual_sub_f32 v23, v21, v18 :: v_dual_add_f32 v6, v18, v19
	v_sub_f32_e32 v19, v19, v21
	s_delay_alu instid0(VALU_DEP_4) | instskip(SKIP_3) | instid1(VALU_DEP_2)
	v_fma_f32 v0, v182, v1, -v0
	v_mul_f32_e32 v22, 0x3f08b237, v22
	v_mul_f32_e32 v10, v25, v10
	v_add_f32_e32 v6, v6, v21
	v_fma_f32 v10, v24, v11, -v10
	v_mul_f32_e32 v11, v181, v14
	s_delay_alu instid0(VALU_DEP_2) | instskip(NEXT) | instid1(VALU_DEP_2)
	v_add_f32_e32 v7, v20, v10
	v_fma_f32 v11, v180, v15, -v11
	s_delay_alu instid0(VALU_DEP_1) | instskip(SKIP_2) | instid1(VALU_DEP_2)
	v_add_f32_e32 v1, v11, v0
	v_dual_fmamk_f32 v15, v23, 0xbeae86e6, v22 :: v_dual_add_f32 v14, v2, v3
	v_dual_sub_f32 v11, v0, v11 :: v_dual_sub_f32 v2, v3, v2
	v_dual_add_f32 v4, v17, v4 :: v_dual_fmac_f32 v15, 0xbee1c552, v6
	s_delay_alu instid0(VALU_DEP_2) | instskip(SKIP_2) | instid1(VALU_DEP_3)
	v_dual_add_f32 v18, v14, v7 :: v_dual_sub_f32 v3, v11, v2
	v_sub_f32_e32 v24, v7, v1
	v_sub_f32_e32 v16, v1, v14
	v_dual_add_f32 v18, v1, v18 :: v_dual_sub_f32 v7, v14, v7
	s_delay_alu instid0(VALU_DEP_4) | instskip(NEXT) | instid1(VALU_DEP_2)
	v_mul_f32_e32 v25, 0x3f08b237, v3
	v_add_f32_e32 v1, v9, v18
	v_add_f32_e32 v9, v13, v4
	v_mul_f32_e32 v17, 0x3f4a47b2, v24
	v_mul_f32_e32 v12, 0x3d64c772, v16
	s_delay_alu instid0(VALU_DEP_3) | instskip(NEXT) | instid1(VALU_DEP_3)
	v_dual_fmamk_f32 v18, v18, 0xbf955555, v1 :: v_dual_add_f32 v9, v5, v9
	v_fmamk_f32 v16, v16, 0x3d64c772, v17
	s_delay_alu instid0(VALU_DEP_2) | instskip(SKIP_1) | instid1(VALU_DEP_3)
	v_add_f32_e32 v0, v8, v9
	v_sub_f32_e32 v24, v4, v5
	v_dual_sub_f32 v5, v5, v13 :: v_dual_add_f32 v16, v16, v18
	v_sub_f32_e32 v8, v10, v20
	v_sub_f32_e32 v4, v13, v4
	s_delay_alu instid0(VALU_DEP_3) | instskip(SKIP_3) | instid1(VALU_DEP_2)
	v_add_f32_e32 v3, v15, v16
	v_fmamk_f32 v9, v9, 0xbf955555, v0
	v_mul_f32_e32 v24, 0x3f4a47b2, v24
	v_sub_f32_e32 v20, v8, v11
	v_dual_fmamk_f32 v10, v5, 0x3d64c772, v24 :: v_dual_mul_f32 v5, 0x3d64c772, v5
	v_dual_sub_f32 v13, v2, v8 :: v_dual_add_f32 v2, v11, v2
	v_fma_f32 v11, 0xbf3bfb3b, v7, -v17
	v_fma_f32 v7, 0x3f3bfb3b, v7, -v12
	s_delay_alu instid0(VALU_DEP_4) | instskip(NEXT) | instid1(VALU_DEP_4)
	v_add_f32_e32 v21, v10, v9
	v_mul_f32_e32 v17, 0xbf5ff5aa, v13
	v_fma_f32 v12, 0xbf5ff5aa, v13, -v25
	v_dual_add_f32 v11, v11, v18 :: v_dual_fmamk_f32 v26, v20, 0xbeae86e6, v25
	v_dual_add_f32 v13, v7, v18 :: v_dual_add_f32 v2, v2, v8
	v_fma_f32 v8, 0xbf5ff5aa, v19, -v22
	v_fma_f32 v17, 0x3eae86e6, v20, -v17
	s_delay_alu instid0(VALU_DEP_2) | instskip(SKIP_1) | instid1(VALU_DEP_3)
	v_fmac_f32_e32 v8, 0xbee1c552, v6
	v_mul_f32_e32 v10, 0xbf5ff5aa, v19
	v_fmac_f32_e32 v17, 0xbee1c552, v2
	v_fma_f32 v14, 0xbf3bfb3b, v4, -v24
	v_fma_f32 v4, 0x3f3bfb3b, v4, -v5
	v_sub_f32_e32 v7, v13, v8
	v_fma_f32 v10, 0x3eae86e6, v23, -v10
	s_delay_alu instid0(VALU_DEP_3) | instskip(NEXT) | instid1(VALU_DEP_2)
	v_add_f32_e32 v18, v4, v9
	v_fmac_f32_e32 v10, 0xbee1c552, v6
	v_add_f32_e32 v14, v14, v9
	v_dual_add_f32 v9, v8, v13 :: v_dual_fmac_f32 v12, 0xbee1c552, v2
	v_dual_fmac_f32 v26, 0xbee1c552, v2 :: v_dual_sub_f32 v13, v16, v15
	s_delay_alu instid0(VALU_DEP_4) | instskip(NEXT) | instid1(VALU_DEP_4)
	v_add_f32_e32 v5, v10, v11
	v_dual_sub_f32 v11, v11, v10 :: v_dual_sub_f32 v4, v14, v17
	v_add_f32_e32 v10, v17, v14
	v_add_nc_u32_e32 v14, 0x5c0, v255
	v_dual_add_f32 v6, v12, v18 :: v_dual_add_nc_u32 v15, 0x1500, v255
	v_sub_f32_e32 v8, v18, v12
	v_add_f32_e32 v12, v26, v21
	v_add_nc_u32_e32 v16, 0x2400, v255
	v_sub_f32_e32 v2, v21, v26
	ds_store_2addr_b64 v14, v[0:1], v[12:13] offset0:5 offset1:248
	ds_store_2addr_b64 v15, v[10:11], v[8:9] offset0:3 offset1:246
	;; [unrolled: 1-line block ×3, first 2 shown]
	ds_store_b64 v255, v[2:3] offset:13176
.LBB0_9:
	s_wait_alu 0xfffe
	s_or_b32 exec_lo, exec_lo, s0
	global_wb scope:SCOPE_SE
	s_wait_storecnt_dscnt 0x0
	s_barrier_signal -1
	s_barrier_wait -1
	global_inv scope:SCOPE_SE
	ds_load_2addr_b64 v[4:7], v255 offset1:63
	v_add_nc_u32_e32 v0, 0xc00, v255
	v_add_nc_u32_e32 v8, 0x2000, v255
	ds_load_2addr_b64 v[0:3], v0 offset0:120 offset1:183
	ds_load_2addr_b64 v[8:11], v8 offset0:110 offset1:173
	s_clause 0x3
	scratch_load_b64 v[12:13], off, off offset:12 th:TH_LOAD_LU
	scratch_load_b64 v[19:20], off, off offset:28 th:TH_LOAD_LU
	;; [unrolled: 1-line block ×3, first 2 shown]
	scratch_load_b32 v40, off, off th:TH_LOAD_LU
	s_mov_b32 s0, 0x9c850ab
	s_mov_b32 s1, 0x3f434393
	s_mul_u64 s[8:9], s[4:5], 0x11b8
	s_wait_loadcnt 0x3
	v_mov_b32_e32 v38, v12
	s_wait_loadcnt_dscnt 0x202
	v_mul_f32_e32 v16, v20, v5
	v_mul_f32_e32 v17, v20, v4
	ds_load_2addr_b64 v[12:15], v255 offset0:126 offset1:189
	s_wait_loadcnt 0x0
	v_mad_co_u64_u32 v[26:27], null, s4, v40, 0
	v_fmac_f32_e32 v16, v19, v4
	v_fma_f32 v4, v19, v5, -v17
	s_wait_dscnt 0x2
	v_mul_f32_e32 v5, v22, v3
	v_mul_f32_e32 v17, v22, v2
	scratch_load_b64 v[22:23], off, off offset:44 th:TH_LOAD_LU ; 8-byte Folded Reload
	v_add_nc_u32_e32 v18, 0x1000, v255
	v_cvt_f64_f32_e32 v[28:29], v16
	v_fmac_f32_e32 v5, v21, v2
	v_fma_f32 v2, v21, v3, -v17
	v_mad_co_u64_u32 v[24:25], null, s6, v38, 0
	v_add_nc_u32_e32 v16, 0x2400, v255
	s_delay_alu instid0(VALU_DEP_4) | instskip(NEXT) | instid1(VALU_DEP_4)
	v_cvt_f64_f32_e32 v[30:31], v5
	v_cvt_f64_f32_e32 v[32:33], v2
	s_delay_alu instid0(VALU_DEP_4) | instskip(NEXT) | instid1(VALU_DEP_1)
	v_mad_co_u64_u32 v[38:39], null, s7, v38, v[25:26]
	v_mov_b32_e32 v25, v38
	v_mad_co_u64_u32 v[39:40], null, s5, v40, v[27:28]
	s_wait_loadcnt_dscnt 0x1
	v_mul_f32_e32 v19, v23, v9
	v_mul_f32_e32 v20, v23, v8
	s_delay_alu instid0(VALU_DEP_2) | instskip(NEXT) | instid1(VALU_DEP_2)
	v_fmac_f32_e32 v19, v22, v8
	v_fma_f32 v3, v22, v9, -v20
	v_add_nc_u32_e32 v20, 0x1400, v255
	v_cvt_f64_f32_e32 v[8:9], v4
	s_delay_alu instid0(VALU_DEP_4) | instskip(NEXT) | instid1(VALU_DEP_4)
	v_cvt_f64_f32_e32 v[34:35], v19
	v_cvt_f64_f32_e32 v[36:37], v3
	ds_load_2addr_b64 v[2:5], v18 offset0:118 offset1:181
	ds_load_2addr_b64 v[16:19], v16 offset0:108 offset1:171
	;; [unrolled: 1-line block ×3, first 2 shown]
	s_clause 0x5
	scratch_load_b64 v[44:45], off, off offset:20 th:TH_LOAD_LU
	scratch_load_b64 v[50:51], off, off offset:140 th:TH_LOAD_LU
	;; [unrolled: 1-line block ×6, first 2 shown]
	s_wait_alu 0xfffe
	v_mul_f64_e32 v[8:9], s[0:1], v[8:9]
	s_wait_loadcnt 0x5
	v_mul_f32_e32 v41, v45, v6
	v_dual_mul_f32 v40, v45, v7 :: v_dual_mov_b32 v27, v39
	s_wait_loadcnt_dscnt 0x202
	v_mul_f32_e32 v39, v53, v3
	v_mul_f32_e32 v49, v56, v14
	v_fma_f32 v38, v44, v7, -v41
	v_mul_f32_e32 v41, v53, v2
	scratch_load_b64 v[53:54], off, off offset:156 th:TH_LOAD_LU ; 8-byte Folded Reload
	s_wait_loadcnt 0x2
	v_mul_f32_e32 v42, v48, v13
	v_mul_f32_e32 v43, v48, v12
	;; [unrolled: 1-line block ×3, first 2 shown]
	v_fmac_f32_e32 v40, v44, v6
	v_fma_f32 v49, v55, v15, -v49
	scratch_load_b64 v[56:57], off, off offset:212 th:TH_LOAD_LU ; 8-byte Folded Reload
	v_fma_f32 v43, v47, v13, -v43
	v_cvt_f64_f32_e32 v[6:7], v40
	s_delay_alu instid0(VALU_DEP_1)
	v_mul_f64_e32 v[6:7], s[0:1], v[6:7]
	s_wait_loadcnt 0x1
	v_dual_mul_f32 v45, v54, v10 :: v_dual_fmac_f32 v42, v47, v12
	v_dual_mul_f32 v46, v51, v5 :: v_dual_fmac_f32 v39, v52, v2
	v_mul_f32_e32 v12, v51, v4
	s_wait_dscnt 0x1
	v_dual_mul_f32 v51, v59, v16 :: v_dual_mul_f32 v44, v54, v11
	s_delay_alu instid0(VALU_DEP_3)
	v_fmac_f32_e32 v46, v50, v4
	v_fma_f32 v40, v52, v3, -v41
	v_fma_f32 v47, v50, v5, -v12
	v_mul_f32_e32 v50, v59, v17
	scratch_load_b64 v[59:60], off, off offset:228 th:TH_LOAD_LU ; 8-byte Folded Reload
	v_fmac_f32_e32 v44, v53, v10
	v_fma_f32 v10, v53, v11, -v45
	v_mul_f64_e32 v[2:3], s[0:1], v[28:29]
	v_mul_f64_e32 v[28:29], s[0:1], v[30:31]
	;; [unrolled: 1-line block ×5, first 2 shown]
	v_cvt_f64_f32_e32 v[36:37], v38
	v_cvt_f64_f32_e32 v[38:39], v39
	;; [unrolled: 1-line block ×5, first 2 shown]
	v_fmac_f32_e32 v48, v55, v14
	v_cvt_f64_f32_e32 v[42:43], v43
	v_lshlrev_b64_e32 v[14:15], 3, v[24:25]
	v_fmac_f32_e32 v50, v58, v16
	v_fma_f32 v51, v58, v17, -v51
	v_cvt_f64_f32_e32 v[16:17], v48
	v_lshlrev_b64_e32 v[24:25], 3, v[26:27]
	v_cvt_f64_f32_e32 v[26:27], v49
	s_wait_loadcnt 0x1
	v_mul_f32_e32 v54, v57, v19
	v_mul_f32_e32 v55, v57, v18
	s_delay_alu instid0(VALU_DEP_2)
	v_fmac_f32_e32 v54, v56, v18
	v_cvt_f32_f64_e32 v18, v[2:3]
	v_add_co_u32 v2, vcc_lo, s2, v14
	s_wait_alu 0xfffd
	v_add_co_ci_u32_e32 v3, vcc_lo, s3, v15, vcc_lo
	s_movk_i32 s2, 0xde88
	s_mov_b32 s3, -1
	v_add_co_u32 v24, vcc_lo, v2, v24
	v_mul_f64_e32 v[10:11], s[0:1], v[10:11]
	v_mul_f64_e32 v[12:13], s[0:1], v[12:13]
	v_add_nc_u32_e32 v2, 0x400, v255
	s_wait_alu 0xfffe
	s_mul_u64 s[2:3], s[4:5], s[2:3]
	s_wait_alu 0xfffd
	v_add_co_ci_u32_e32 v25, vcc_lo, v3, v25, vcc_lo
	v_mul_f64_e32 v[16:17], s[0:1], v[16:17]
	v_mul_f64_e32 v[26:27], s[0:1], v[26:27]
	s_delay_alu instid0(VALU_DEP_2) | instskip(NEXT) | instid1(VALU_DEP_2)
	v_cvt_f32_f64_e32 v16, v[16:17]
	v_cvt_f32_f64_e32 v17, v[26:27]
	s_wait_loadcnt_dscnt 0x0
	v_mul_f32_e32 v53, v60, v20
	v_cvt_f64_f32_e32 v[4:5], v44
	v_cvt_f64_f32_e32 v[44:45], v46
	;; [unrolled: 1-line block ×3, first 2 shown]
	v_mul_f32_e32 v52, v60, v21
	v_fma_f32 v48, v59, v21, -v53
	v_fma_f32 v53, v56, v19, -v55
	v_cvt_f32_f64_e32 v19, v[8:9]
	v_cvt_f32_f64_e32 v8, v[28:29]
	v_fmac_f32_e32 v52, v59, v20
	v_cvt_f32_f64_e32 v9, v[30:31]
	v_cvt_f32_f64_e32 v20, v[32:33]
	v_mul_f64_e32 v[28:29], s[0:1], v[36:37]
	v_mul_f64_e32 v[30:31], s[0:1], v[38:39]
	;; [unrolled: 1-line block ×3, first 2 shown]
	v_cvt_f64_f32_e32 v[36:37], v50
	v_cvt_f32_f64_e32 v21, v[34:35]
	v_mul_f64_e32 v[34:35], s[0:1], v[42:43]
	v_cvt_f64_f32_e32 v[42:43], v51
	v_cvt_f64_f32_e32 v[50:51], v53
	v_mul_f64_e32 v[14:15], s[0:1], v[4:5]
	v_mul_f64_e32 v[38:39], s[0:1], v[44:45]
	;; [unrolled: 1-line block ×3, first 2 shown]
	v_cvt_f64_f32_e32 v[44:45], v52
	v_cvt_f64_f32_e32 v[46:47], v48
	v_add_co_u32 v52, vcc_lo, v24, s8
	s_wait_alu 0xfffd
	v_add_co_ci_u32_e32 v53, vcc_lo, s9, v25, vcc_lo
	v_cvt_f64_f32_e32 v[48:49], v54
	s_delay_alu instid0(VALU_DEP_3) | instskip(SKIP_1) | instid1(VALU_DEP_3)
	v_add_co_u32 v54, vcc_lo, v52, s8
	s_wait_alu 0xfffd
	v_add_co_ci_u32_e32 v55, vcc_lo, s9, v53, vcc_lo
	ds_load_2addr_b64 v[2:5], v2 offset0:124 offset1:187
	s_clause 0x2
	global_store_b64 v[24:25], v[18:19], off
	global_store_b64 v[52:53], v[8:9], off
	;; [unrolled: 1-line block ×3, first 2 shown]
	v_cvt_f32_f64_e32 v20, v[30:31]
	v_cvt_f32_f64_e32 v21, v[32:33]
	v_mul_f64_e32 v[24:25], s[0:1], v[36:37]
	scratch_load_b64 v[52:53], off, off offset:188 th:TH_LOAD_LU ; 8-byte Folded Reload
	v_cvt_f32_f64_e32 v18, v[6:7]
	v_cvt_f32_f64_e32 v19, v[28:29]
	v_mul_f64_e32 v[28:29], s[0:1], v[42:43]
	v_cvt_f32_f64_e32 v14, v[14:15]
	v_cvt_f32_f64_e32 v15, v[10:11]
	;; [unrolled: 1-line block ×4, first 2 shown]
	scratch_load_b64 v[37:38], off, off offset:204 th:TH_LOAD_LU ; 8-byte Folded Reload
	v_mul_f64_e32 v[30:31], s[0:1], v[44:45]
	v_mul_f64_e32 v[32:33], s[0:1], v[46:47]
	scratch_load_b64 v[45:46], off, off offset:180 th:TH_LOAD_LU ; 8-byte Folded Reload
	v_add_nc_u32_e32 v6, 0x2800, v255
	v_cvt_f32_f64_e32 v13, v[40:41]
	v_cvt_f32_f64_e32 v11, v[34:35]
	ds_load_2addr_b64 v[6:9], v6 offset0:106 offset1:169
	s_wait_loadcnt 0x2
	v_mul_f32_e32 v40, v53, v23
	s_delay_alu instid0(VALU_DEP_1) | instskip(SKIP_1) | instid1(VALU_DEP_2)
	v_fmac_f32_e32 v40, v52, v22
	v_mul_f32_e32 v22, v53, v22
	v_cvt_f64_f32_e32 v[40:41], v40
	s_delay_alu instid0(VALU_DEP_2)
	v_fma_f32 v22, v52, v23, -v22
	s_wait_loadcnt_dscnt 0x101
	v_mul_f32_e32 v36, v38, v3
	v_mul_f32_e32 v34, v38, v2
	s_wait_loadcnt_dscnt 0x0
	v_mul_f32_e32 v42, v46, v7
	v_mul_f32_e32 v43, v46, v6
	scratch_load_b64 v[46:47], off, off offset:196 th:TH_LOAD_LU ; 8-byte Folded Reload
	v_fmac_f32_e32 v36, v37, v2
	v_fma_f32 v38, v37, v3, -v34
	v_mul_f64_e32 v[2:3], s[0:1], v[48:49]
	v_mul_f64_e32 v[34:35], s[0:1], v[50:51]
	v_fmac_f32_e32 v42, v45, v6
	v_cvt_f64_f32_e32 v[36:37], v36
	v_cvt_f64_f32_e32 v[38:39], v38
	v_fma_f32 v43, v45, v7, -v43
	v_cvt_f64_f32_e32 v[6:7], v22
	v_cvt_f64_f32_e32 v[22:23], v42
	s_delay_alu instid0(VALU_DEP_3) | instskip(SKIP_4) | instid1(VALU_DEP_1)
	v_cvt_f64_f32_e32 v[42:43], v43
	v_cvt_f32_f64_e32 v26, v[2:3]
	v_cvt_f32_f64_e32 v27, v[34:35]
	v_mul_f64_e32 v[6:7], s[0:1], v[6:7]
	v_mul_f64_e32 v[22:23], s[0:1], v[22:23]
	v_cvt_f32_f64_e32 v22, v[22:23]
	s_wait_loadcnt 0x0
	v_mul_f32_e32 v44, v47, v5
	s_delay_alu instid0(VALU_DEP_1) | instskip(SKIP_1) | instid1(VALU_DEP_2)
	v_fmac_f32_e32 v44, v46, v4
	v_mul_f32_e32 v4, v47, v4
	v_cvt_f64_f32_e32 v[44:45], v44
	s_delay_alu instid0(VALU_DEP_2)
	v_fma_f32 v46, v46, v5, -v4
	s_wait_alu 0xfffe
	v_add_co_u32 v4, vcc_lo, v54, s2
	s_wait_alu 0xfffd
	v_add_co_ci_u32_e32 v5, vcc_lo, s3, v55, vcc_lo
	v_cvt_f64_f32_e32 v[46:47], v46
	s_delay_alu instid0(VALU_DEP_3) | instskip(SKIP_1) | instid1(VALU_DEP_3)
	v_add_co_u32 v48, vcc_lo, v4, s8
	s_wait_alu 0xfffd
	v_add_co_ci_u32_e32 v49, vcc_lo, s9, v5, vcc_lo
	global_store_b64 v[4:5], v[18:19], off
	v_add_co_u32 v4, vcc_lo, v48, s8
	s_wait_alu 0xfffd
	v_add_co_ci_u32_e32 v5, vcc_lo, s9, v49, vcc_lo
	global_store_b64 v[48:49], v[20:21], off
	v_cvt_f32_f64_e32 v20, v[24:25]
	v_cvt_f32_f64_e32 v21, v[28:29]
	;; [unrolled: 1-line block ×4, first 2 shown]
	global_store_b64 v[4:5], v[14:15], off
	v_mul_f64_e32 v[14:15], s[0:1], v[40:41]
	v_add_co_u32 v18, vcc_lo, v4, s2
	s_wait_alu 0xfffd
	v_add_co_ci_u32_e32 v19, vcc_lo, s3, v5, vcc_lo
	v_mul_f64_e32 v[28:29], s[0:1], v[36:37]
	s_delay_alu instid0(VALU_DEP_3) | instskip(SKIP_1) | instid1(VALU_DEP_3)
	v_add_co_u32 v2, vcc_lo, v18, s8
	s_wait_alu 0xfffd
	v_add_co_ci_u32_e32 v3, vcc_lo, s9, v19, vcc_lo
	global_store_b64 v[18:19], v[10:11], off
	global_store_b64 v[2:3], v[12:13], off
	v_add_co_u32 v10, vcc_lo, v2, s8
	s_wait_alu 0xfffd
	v_add_co_ci_u32_e32 v11, vcc_lo, s9, v3, vcc_lo
	v_mul_f64_e32 v[30:31], s[0:1], v[38:39]
	s_delay_alu instid0(VALU_DEP_3) | instskip(SKIP_1) | instid1(VALU_DEP_3)
	v_add_co_u32 v12, vcc_lo, v10, s2
	s_wait_alu 0xfffd
	v_add_co_ci_u32_e32 v13, vcc_lo, s3, v11, vcc_lo
	v_add_nc_u32_e32 v2, 0x1800, v255
	s_delay_alu instid0(VALU_DEP_3) | instskip(SKIP_1) | instid1(VALU_DEP_3)
	v_add_co_u32 v36, vcc_lo, v12, s8
	s_wait_alu 0xfffd
	v_add_co_ci_u32_e32 v37, vcc_lo, s9, v13, vcc_lo
	ds_load_2addr_b64 v[2:5], v2 offset0:114 offset1:177
	v_add_co_u32 v38, vcc_lo, v36, s8
	s_wait_alu 0xfffd
	v_add_co_ci_u32_e32 v39, vcc_lo, s9, v37, vcc_lo
	global_store_b64 v[10:11], v[20:21], off
	global_store_b64 v[12:13], v[16:17], off
	;; [unrolled: 1-line block ×4, first 2 shown]
	scratch_load_b64 v[36:37], off, off offset:116 th:TH_LOAD_LU ; 8-byte Folded Reload
	v_cvt_f32_f64_e32 v26, v[14:15]
	scratch_load_b64 v[15:16], off, off offset:132 th:TH_LOAD_LU ; 8-byte Folded Reload
	v_mul_f64_e32 v[32:33], s[0:1], v[42:43]
	scratch_load_b64 v[41:42], off, off offset:100 th:TH_LOAD_LU ; 8-byte Folded Reload
	v_mul_f64_e32 v[18:19], s[0:1], v[44:45]
	v_mul_f64_e32 v[34:35], s[0:1], v[46:47]
	v_cvt_f32_f64_e32 v27, v[6:7]
	s_clause 0x3
	scratch_load_b64 v[51:52], off, off offset:92 th:TH_LOAD_LU
	scratch_load_b64 v[49:50], off, off offset:76 th:TH_LOAD_LU
	;; [unrolled: 1-line block ×4, first 2 shown]
	v_add_nc_u32_e32 v14, 0x2c00, v255
	v_add_co_u32 v24, vcc_lo, v38, s2
	s_wait_alu 0xfffd
	v_add_co_ci_u32_e32 v25, vcc_lo, s3, v39, vcc_lo
	v_add_nc_u32_e32 v10, 0x800, v255
	v_cvt_f32_f64_e32 v21, v[30:31]
	v_cvt_f32_f64_e32 v20, v[28:29]
	ds_load_2addr_b64 v[10:13], v10 offset0:122 offset1:185
	v_cvt_f32_f64_e32 v23, v[32:33]
	v_cvt_f32_f64_e32 v18, v[18:19]
	;; [unrolled: 1-line block ×3, first 2 shown]
	scratch_load_b64 v[33:34], off, off offset:124 th:TH_LOAD_LU ; 8-byte Folded Reload
	s_wait_loadcnt 0x7
	v_mul_f32_e32 v30, v37, v9
	s_wait_loadcnt_dscnt 0x601
	v_mul_f32_e32 v6, v16, v3
	v_mul_f32_e32 v7, v16, v2
	s_delay_alu instid0(VALU_DEP_3) | instskip(NEXT) | instid1(VALU_DEP_3)
	v_fmac_f32_e32 v30, v36, v8
	v_fmac_f32_e32 v6, v15, v2
	s_delay_alu instid0(VALU_DEP_3)
	v_fma_f32 v7, v15, v3, -v7
	ds_load_2addr_b64 v[14:17], v14 offset0:104 offset1:167
	s_wait_loadcnt 0x2
	v_mul_f32_e32 v48, v57, v1
	v_cvt_f64_f32_e32 v[30:31], v30
	v_cvt_f64_f32_e32 v[2:3], v6
	v_mul_f32_e32 v6, v37, v8
	v_cvt_f64_f32_e32 v[28:29], v7
	v_fmac_f32_e32 v48, v56, v0
	v_mul_f32_e32 v0, v57, v0
	scratch_load_b64 v[57:58], off, off offset:68 th:TH_LOAD_LU ; 8-byte Folded Reload
	v_fma_f32 v6, v36, v9, -v6
	v_mul_f32_e32 v36, v42, v5
	v_add_nc_u32_e32 v8, 0x1c00, v255
	v_fma_f32 v0, v56, v1, -v0
	s_delay_alu instid0(VALU_DEP_3)
	v_fmac_f32_e32 v36, v41, v4
	v_mul_f32_e32 v4, v42, v4
	scratch_load_b64 v[42:43], off, off offset:84 th:TH_LOAD_LU ; 8-byte Folded Reload
	v_cvt_f64_f32_e32 v[0:1], v0
	v_cvt_f64_f32_e32 v[36:37], v36
	v_fma_f32 v4, v41, v5, -v4
	s_wait_dscnt 0x0
	v_mul_f32_e32 v46, v50, v17
	v_mul_f32_e32 v47, v50, v16
	s_delay_alu instid0(VALU_DEP_3) | instskip(NEXT) | instid1(VALU_DEP_3)
	v_cvt_f64_f32_e32 v[4:5], v4
	v_fmac_f32_e32 v46, v49, v16
	s_delay_alu instid0(VALU_DEP_3)
	v_fma_f32 v47, v49, v17, -v47
	v_cvt_f64_f32_e32 v[48:49], v48
	s_wait_loadcnt 0x2
	v_mul_f32_e32 v32, v34, v11
	v_mul_f32_e32 v7, v34, v10
	v_mul_f64_e32 v[30:31], s[0:1], v[30:31]
	s_delay_alu instid0(VALU_DEP_3) | instskip(NEXT) | instid1(VALU_DEP_3)
	v_fmac_f32_e32 v32, v33, v10
	v_fma_f32 v34, v33, v11, -v7
	v_cvt_f64_f32_e32 v[10:11], v6
	ds_load_2addr_b64 v[6:9], v8 offset0:112 offset1:175
	v_mul_f64_e32 v[2:3], s[0:1], v[2:3]
	v_cvt_f64_f32_e32 v[32:33], v32
	v_cvt_f64_f32_e32 v[34:35], v34
	v_mul_f64_e32 v[28:29], s[0:1], v[28:29]
	v_mul_f64_e32 v[0:1], s[0:1], v[0:1]
	;; [unrolled: 1-line block ×3, first 2 shown]
	s_wait_dscnt 0x0
	v_dual_mul_f32 v45, v52, v6 :: v_dual_mul_f32 v50, v55, v9
	v_mul_f64_e32 v[4:5], s[0:1], v[4:5]
	s_delay_alu instid0(VALU_DEP_2) | instskip(NEXT) | instid1(VALU_DEP_3)
	v_fma_f32 v45, v51, v7, -v45
	v_fmac_f32_e32 v50, v54, v8
	s_delay_alu instid0(VALU_DEP_2)
	v_cvt_f64_f32_e32 v[16:17], v45
	v_cvt_f32_f64_e32 v30, v[30:31]
	v_mul_f64_e32 v[10:11], s[0:1], v[10:11]
	v_cvt_f32_f64_e32 v2, v[2:3]
	v_mul_f64_e32 v[32:33], s[0:1], v[32:33]
	v_mul_f64_e32 v[34:35], s[0:1], v[34:35]
	v_cvt_f32_f64_e32 v3, v[28:29]
	v_cvt_f32_f64_e32 v36, v[36:37]
	;; [unrolled: 1-line block ×3, first 2 shown]
	v_mul_f64_e32 v[16:17], s[0:1], v[16:17]
	v_cvt_f32_f64_e32 v31, v[10:11]
	v_cvt_f32_f64_e32 v32, v[32:33]
	;; [unrolled: 1-line block ×3, first 2 shown]
	s_wait_loadcnt 0x0
	v_mul_f32_e32 v38, v43, v15
	v_mul_f32_e32 v39, v43, v14
	scratch_load_b64 v[43:44], off, off offset:108 th:TH_LOAD_LU ; 8-byte Folded Reload
	v_fmac_f32_e32 v38, v42, v14
	v_fma_f32 v14, v42, v15, -v39
	s_delay_alu instid0(VALU_DEP_1) | instskip(NEXT) | instid1(VALU_DEP_1)
	v_cvt_f64_f32_e32 v[14:15], v14
	v_mul_f64_e32 v[14:15], s[0:1], v[14:15]
	s_delay_alu instid0(VALU_DEP_1) | instskip(SKIP_4) | instid1(VALU_DEP_3)
	v_cvt_f32_f64_e32 v5, v[14:15]
	s_wait_loadcnt 0x0
	v_mul_f32_e32 v40, v44, v13
	v_mul_f32_e32 v41, v44, v12
	;; [unrolled: 1-line block ×3, first 2 shown]
	v_fmac_f32_e32 v40, v43, v12
	s_delay_alu instid0(VALU_DEP_3) | instskip(SKIP_1) | instid1(VALU_DEP_4)
	v_fma_f32 v42, v43, v13, -v41
	v_cvt_f64_f32_e32 v[12:13], v38
	v_fmac_f32_e32 v44, v51, v6
	v_mul_f32_e32 v51, v55, v8
	v_cvt_f64_f32_e32 v[38:39], v40
	ds_load_b64 v[40:41], v255 offset:13104
	v_cvt_f64_f32_e32 v[42:43], v42
	v_cvt_f64_f32_e32 v[6:7], v44
	v_fma_f32 v51, v54, v9, -v51
	v_cvt_f64_f32_e32 v[44:45], v46
	v_cvt_f64_f32_e32 v[46:47], v47
	;; [unrolled: 1-line block ×3, first 2 shown]
	v_add_co_u32 v54, vcc_lo, v24, s8
	s_wait_alu 0xfffd
	v_add_co_ci_u32_e32 v55, vcc_lo, s9, v25, vcc_lo
	s_delay_alu instid0(VALU_DEP_2) | instskip(SKIP_3) | instid1(VALU_DEP_2)
	v_add_co_u32 v56, vcc_lo, v54, s8
	s_wait_dscnt 0x0
	v_mul_f32_e32 v52, v58, v41
	v_mul_f32_e32 v53, v58, v40
	v_fmac_f32_e32 v52, v57, v40
	s_delay_alu instid0(VALU_DEP_2)
	v_fma_f32 v53, v57, v41, -v53
	v_cvt_f64_f32_e32 v[40:41], v51
	s_wait_alu 0xfffd
	v_add_co_ci_u32_e32 v57, vcc_lo, s9, v55, vcc_lo
	v_cvt_f64_f32_e32 v[50:51], v52
	v_cvt_f64_f32_e32 v[52:53], v53
	v_add_co_u32 v58, vcc_lo, v56, s2
	v_mul_f64_e32 v[12:13], s[0:1], v[12:13]
	s_wait_alu 0xfffd
	v_add_co_ci_u32_e32 v59, vcc_lo, s3, v57, vcc_lo
	global_store_b64 v[24:25], v[20:21], off
	global_store_b64 v[54:55], v[26:27], off
	;; [unrolled: 1-line block ×4, first 2 shown]
	v_mul_f64_e32 v[18:19], s[0:1], v[38:39]
	v_mul_f64_e32 v[20:21], s[0:1], v[42:43]
	;; [unrolled: 1-line block ×7, first 2 shown]
	v_add_co_u32 v28, vcc_lo, v58, s8
	s_wait_alu 0xfffd
	v_add_co_ci_u32_e32 v29, vcc_lo, s9, v59, vcc_lo
	s_delay_alu instid0(VALU_DEP_2) | instskip(SKIP_1) | instid1(VALU_DEP_2)
	v_add_co_u32 v10, vcc_lo, v28, s8
	s_wait_alu 0xfffd
	v_add_co_ci_u32_e32 v11, vcc_lo, s9, v29, vcc_lo
	global_store_b64 v[28:29], v[2:3], off
	v_add_co_u32 v34, vcc_lo, v10, s2
	s_wait_alu 0xfffd
	v_add_co_ci_u32_e32 v35, vcc_lo, s3, v11, vcc_lo
	global_store_b64 v[10:11], v[30:31], off
	global_store_b64 v[34:35], v[32:33], off
	v_mul_f64_e32 v[38:39], s[0:1], v[40:41]
	v_mul_f64_e32 v[40:41], s[0:1], v[50:51]
	;; [unrolled: 1-line block ×3, first 2 shown]
	v_cvt_f32_f64_e32 v4, v[12:13]
	v_add_co_u32 v12, vcc_lo, v34, s8
	s_wait_alu 0xfffd
	v_add_co_ci_u32_e32 v13, vcc_lo, s9, v35, vcc_lo
	v_cvt_f32_f64_e32 v14, v[18:19]
	v_cvt_f32_f64_e32 v15, v[20:21]
	;; [unrolled: 1-line block ×9, first 2 shown]
	v_add_co_u32 v20, vcc_lo, v12, s8
	s_wait_alu 0xfffd
	v_add_co_ci_u32_e32 v21, vcc_lo, s9, v13, vcc_lo
	global_store_b64 v[12:13], v[36:37], off
	v_add_co_u32 v2, vcc_lo, v20, s2
	s_wait_alu 0xfffd
	v_add_co_ci_u32_e32 v3, vcc_lo, s3, v21, vcc_lo
	s_delay_alu instid0(VALU_DEP_2) | instskip(SKIP_1) | instid1(VALU_DEP_2)
	v_add_co_u32 v10, vcc_lo, v2, s8
	s_wait_alu 0xfffd
	v_add_co_ci_u32_e32 v11, vcc_lo, s9, v3, vcc_lo
	s_delay_alu instid0(VALU_DEP_2) | instskip(SKIP_2) | instid1(VALU_DEP_3)
	v_add_co_u32 v22, vcc_lo, v10, s8
	v_cvt_f32_f64_e32 v1, v[38:39]
	s_wait_alu 0xfffd
	v_add_co_ci_u32_e32 v23, vcc_lo, s9, v11, vcc_lo
	v_cvt_f32_f64_e32 v8, v[40:41]
	v_cvt_f32_f64_e32 v9, v[42:43]
	v_add_co_u32 v12, vcc_lo, v22, s2
	s_wait_alu 0xfffd
	v_add_co_ci_u32_e32 v13, vcc_lo, s3, v23, vcc_lo
	global_store_b64 v[20:21], v[4:5], off
	v_add_co_u32 v4, vcc_lo, v12, s8
	s_wait_alu 0xfffd
	v_add_co_ci_u32_e32 v5, vcc_lo, s9, v13, vcc_lo
	global_store_b64 v[2:3], v[14:15], off
	;; [unrolled: 4-line block ×3, first 2 shown]
	global_store_b64 v[22:23], v[16:17], off
	global_store_b64 v[12:13], v[18:19], off
	;; [unrolled: 1-line block ×4, first 2 shown]
.LBB0_10:
	s_nop 0
	s_sendmsg sendmsg(MSG_DEALLOC_VGPRS)
	s_endpgm
	.section	.rodata,"a",@progbits
	.p2align	6, 0x0
	.amdhsa_kernel bluestein_single_fwd_len1701_dim1_sp_op_CI_CI
		.amdhsa_group_segment_fixed_size 13608
		.amdhsa_private_segment_fixed_size 504
		.amdhsa_kernarg_size 104
		.amdhsa_user_sgpr_count 2
		.amdhsa_user_sgpr_dispatch_ptr 0
		.amdhsa_user_sgpr_queue_ptr 0
		.amdhsa_user_sgpr_kernarg_segment_ptr 1
		.amdhsa_user_sgpr_dispatch_id 0
		.amdhsa_user_sgpr_private_segment_size 0
		.amdhsa_wavefront_size32 1
		.amdhsa_uses_dynamic_stack 0
		.amdhsa_enable_private_segment 1
		.amdhsa_system_sgpr_workgroup_id_x 1
		.amdhsa_system_sgpr_workgroup_id_y 0
		.amdhsa_system_sgpr_workgroup_id_z 0
		.amdhsa_system_sgpr_workgroup_info 0
		.amdhsa_system_vgpr_workitem_id 0
		.amdhsa_next_free_vgpr 256
		.amdhsa_next_free_sgpr 20
		.amdhsa_reserve_vcc 1
		.amdhsa_float_round_mode_32 0
		.amdhsa_float_round_mode_16_64 0
		.amdhsa_float_denorm_mode_32 3
		.amdhsa_float_denorm_mode_16_64 3
		.amdhsa_fp16_overflow 0
		.amdhsa_workgroup_processor_mode 1
		.amdhsa_memory_ordered 1
		.amdhsa_forward_progress 0
		.amdhsa_round_robin_scheduling 0
		.amdhsa_exception_fp_ieee_invalid_op 0
		.amdhsa_exception_fp_denorm_src 0
		.amdhsa_exception_fp_ieee_div_zero 0
		.amdhsa_exception_fp_ieee_overflow 0
		.amdhsa_exception_fp_ieee_underflow 0
		.amdhsa_exception_fp_ieee_inexact 0
		.amdhsa_exception_int_div_zero 0
	.end_amdhsa_kernel
	.text
.Lfunc_end0:
	.size	bluestein_single_fwd_len1701_dim1_sp_op_CI_CI, .Lfunc_end0-bluestein_single_fwd_len1701_dim1_sp_op_CI_CI
                                        ; -- End function
	.section	.AMDGPU.csdata,"",@progbits
; Kernel info:
; codeLenInByte = 33888
; NumSgprs: 22
; NumVgprs: 256
; ScratchSize: 504
; MemoryBound: 0
; FloatMode: 240
; IeeeMode: 1
; LDSByteSize: 13608 bytes/workgroup (compile time only)
; SGPRBlocks: 2
; VGPRBlocks: 31
; NumSGPRsForWavesPerEU: 22
; NumVGPRsForWavesPerEU: 256
; Occupancy: 5
; WaveLimiterHint : 1
; COMPUTE_PGM_RSRC2:SCRATCH_EN: 1
; COMPUTE_PGM_RSRC2:USER_SGPR: 2
; COMPUTE_PGM_RSRC2:TRAP_HANDLER: 0
; COMPUTE_PGM_RSRC2:TGID_X_EN: 1
; COMPUTE_PGM_RSRC2:TGID_Y_EN: 0
; COMPUTE_PGM_RSRC2:TGID_Z_EN: 0
; COMPUTE_PGM_RSRC2:TIDIG_COMP_CNT: 0
	.text
	.p2alignl 7, 3214868480
	.fill 96, 4, 3214868480
	.type	__hip_cuid_6bc0a2055525f53c,@object ; @__hip_cuid_6bc0a2055525f53c
	.section	.bss,"aw",@nobits
	.globl	__hip_cuid_6bc0a2055525f53c
__hip_cuid_6bc0a2055525f53c:
	.byte	0                               ; 0x0
	.size	__hip_cuid_6bc0a2055525f53c, 1

	.ident	"AMD clang version 19.0.0git (https://github.com/RadeonOpenCompute/llvm-project roc-6.4.0 25133 c7fe45cf4b819c5991fe208aaa96edf142730f1d)"
	.section	".note.GNU-stack","",@progbits
	.addrsig
	.addrsig_sym __hip_cuid_6bc0a2055525f53c
	.amdgpu_metadata
---
amdhsa.kernels:
  - .args:
      - .actual_access:  read_only
        .address_space:  global
        .offset:         0
        .size:           8
        .value_kind:     global_buffer
      - .actual_access:  read_only
        .address_space:  global
        .offset:         8
        .size:           8
        .value_kind:     global_buffer
      - .actual_access:  read_only
        .address_space:  global
        .offset:         16
        .size:           8
        .value_kind:     global_buffer
      - .actual_access:  read_only
        .address_space:  global
        .offset:         24
        .size:           8
        .value_kind:     global_buffer
      - .actual_access:  read_only
        .address_space:  global
        .offset:         32
        .size:           8
        .value_kind:     global_buffer
      - .offset:         40
        .size:           8
        .value_kind:     by_value
      - .address_space:  global
        .offset:         48
        .size:           8
        .value_kind:     global_buffer
      - .address_space:  global
        .offset:         56
        .size:           8
        .value_kind:     global_buffer
      - .address_space:  global
        .offset:         64
        .size:           8
        .value_kind:     global_buffer
      - .address_space:  global
        .offset:         72
        .size:           8
        .value_kind:     global_buffer
      - .offset:         80
        .size:           4
        .value_kind:     by_value
      - .address_space:  global
        .offset:         88
        .size:           8
        .value_kind:     global_buffer
      - .address_space:  global
        .offset:         96
        .size:           8
        .value_kind:     global_buffer
    .group_segment_fixed_size: 13608
    .kernarg_segment_align: 8
    .kernarg_segment_size: 104
    .language:       OpenCL C
    .language_version:
      - 2
      - 0
    .max_flat_workgroup_size: 63
    .name:           bluestein_single_fwd_len1701_dim1_sp_op_CI_CI
    .private_segment_fixed_size: 504
    .sgpr_count:     22
    .sgpr_spill_count: 0
    .symbol:         bluestein_single_fwd_len1701_dim1_sp_op_CI_CI.kd
    .uniform_work_group_size: 1
    .uses_dynamic_stack: false
    .vgpr_count:     256
    .vgpr_spill_count: 131
    .wavefront_size: 32
    .workgroup_processor_mode: 1
amdhsa.target:   amdgcn-amd-amdhsa--gfx1201
amdhsa.version:
  - 1
  - 2
...

	.end_amdgpu_metadata
